;; amdgpu-corpus repo=ROCm/rocFFT kind=compiled arch=gfx906 opt=O3
	.text
	.amdgcn_target "amdgcn-amd-amdhsa--gfx906"
	.amdhsa_code_object_version 6
	.protected	bluestein_single_fwd_len784_dim1_half_op_CI_CI ; -- Begin function bluestein_single_fwd_len784_dim1_half_op_CI_CI
	.globl	bluestein_single_fwd_len784_dim1_half_op_CI_CI
	.p2align	8
	.type	bluestein_single_fwd_len784_dim1_half_op_CI_CI,@function
bluestein_single_fwd_len784_dim1_half_op_CI_CI: ; @bluestein_single_fwd_len784_dim1_half_op_CI_CI
; %bb.0:
	s_load_dwordx4 s[16:19], s[4:5], 0x28
	v_mul_u32_u24_e32 v1, 0x493, v0
	v_add_u32_sdwa v16, s6, v1 dst_sel:DWORD dst_unused:UNUSED_PAD src0_sel:DWORD src1_sel:WORD_1
	v_mov_b32_e32 v17, 0
	s_waitcnt lgkmcnt(0)
	v_cmp_gt_u64_e32 vcc, s[16:17], v[16:17]
	s_and_saveexec_b64 s[0:1], vcc
	s_cbranch_execz .LBB0_2
; %bb.1:
	s_load_dwordx4 s[8:11], s[4:5], 0x18
	s_load_dwordx4 s[0:3], s[4:5], 0x0
	v_mov_b32_e32 v2, 56
	v_mul_lo_u16_sdwa v1, v1, v2 dst_sel:DWORD dst_unused:UNUSED_PAD src0_sel:WORD_1 src1_sel:DWORD
	v_sub_u16_e32 v43, v0, v1
	s_waitcnt lgkmcnt(0)
	s_load_dwordx4 s[12:15], s[8:9], 0x0
	v_lshlrev_b32_e32 v37, 2, v43
	global_load_dword v44, v37, s[0:1]
	v_or_b32_e32 v39, 0x1c0, v43
	v_mov_b32_e32 v36, 0xe0
	s_waitcnt lgkmcnt(0)
	v_mad_u64_u32 v[0:1], s[6:7], s14, v16, 0
	v_mad_u64_u32 v[2:3], s[6:7], s12, v43, 0
	s_mul_i32 s8, s13, 0x620
	s_mul_hi_u32 s14, s12, 0x620
	v_mad_u64_u32 v[4:5], s[6:7], s15, v16, v[1:2]
	s_mul_i32 s15, s12, 0x620
	s_mul_i32 s20, s12, 0xfffffac0
	v_mad_u64_u32 v[5:6], s[6:7], s13, v43, v[3:4]
	v_mov_b32_e32 v1, v4
	v_lshlrev_b64 v[0:1], 2, v[0:1]
	v_mov_b32_e32 v3, v5
	v_mov_b32_e32 v4, s19
	v_add_co_u32_e32 v5, vcc, s18, v0
	v_addc_co_u32_e32 v6, vcc, v4, v1, vcc
	v_lshlrev_b64 v[0:1], 2, v[2:3]
	s_add_u32 s6, s0, 0xc40
	v_add_co_u32_e32 v0, vcc, v5, v0
	v_addc_co_u32_e32 v1, vcc, v6, v1, vcc
	global_load_dword v7, v[0:1], off
	s_addc_u32 s7, s1, 0
	s_add_i32 s14, s14, s8
	v_mov_b32_e32 v2, s14
	v_add_co_u32_e32 v0, vcc, s15, v0
	v_addc_co_u32_e32 v1, vcc, v1, v2, vcc
	v_mad_u64_u32 v[2:3], s[16:17], s12, v39, 0
	s_mul_hi_u32 s19, s12, 0xfffffac0
	global_load_dword v8, v[0:1], off
	global_load_dword v42, v37, s[0:1] offset:1568
	v_mad_u64_u32 v[3:4], s[16:17], s13, v39, v[3:4]
	s_mul_i32 s18, s13, 0xfffffac0
	s_sub_i32 s19, s19, s12
	s_add_i32 s16, s19, s18
	v_mov_b32_e32 v9, s16
	v_add_co_u32_e32 v0, vcc, s20, v0
	v_lshlrev_b64 v[2:3], 2, v[2:3]
	v_addc_co_u32_e32 v1, vcc, v1, v9, vcc
	s_load_dwordx4 s[8:11], s[10:11], 0x0
	global_load_dword v40, v37, s[0:1] offset:1792
	global_load_dword v35, v37, s[0:1] offset:2016
	;; [unrolled: 1-line block ×8, first 2 shown]
	global_load_dword v9, v[0:1], off
	v_add_co_u32_e32 v2, vcc, v5, v2
	v_addc_co_u32_e32 v3, vcc, v6, v3, vcc
	global_load_dword v2, v[2:3], off
	s_mul_i32 s21, s13, 0xe0
	v_mad_u64_u32 v[0:1], s[12:13], s12, v36, v[0:1]
	v_mov_b32_e32 v4, s14
	v_mov_b32_e32 v5, s16
	v_add_u32_e32 v1, s21, v1
	global_load_dword v6, v[0:1], off
	v_add_co_u32_e32 v0, vcc, s15, v0
	v_addc_co_u32_e32 v1, vcc, v1, v4, vcc
	global_load_dword v4, v[0:1], off
	v_add_co_u32_e32 v0, vcc, s20, v0
	v_addc_co_u32_e32 v1, vcc, v1, v5, vcc
	global_load_dword v5, v[0:1], off
	v_mov_b32_e32 v3, s14
	v_add_co_u32_e32 v0, vcc, s15, v0
	v_addc_co_u32_e32 v1, vcc, v1, v3, vcc
	v_mov_b32_e32 v12, s14
	v_mov_b32_e32 v14, s16
	;; [unrolled: 1-line block ×5, first 2 shown]
	v_add_u32_e32 v45, 0x400, v37
	v_add_u32_e32 v29, 0x800, v37
	;; [unrolled: 1-line block ×3, first 2 shown]
	v_lshlrev_b32_e32 v49, 3, v43
	s_movk_i32 s12, 0x7c
	s_movk_i32 s13, 0x2fc
	;; [unrolled: 1-line block ×3, first 2 shown]
	s_mov_b32 s17, 0xb9e0
	s_movk_i32 s19, 0x3b00
	s_load_dwordx2 s[4:5], s[4:5], 0x38
	s_waitcnt vmcnt(15)
	v_lshrrev_b32_e32 v3, 16, v7
	v_mul_f16_sdwa v10, v44, v7 dst_sel:DWORD dst_unused:UNUSED_PAD src0_sel:WORD_1 src1_sel:DWORD
	v_mul_f16_sdwa v11, v44, v3 dst_sel:DWORD dst_unused:UNUSED_PAD src0_sel:WORD_1 src1_sel:DWORD
	v_fma_f16 v3, v44, v3, -v10
	v_fma_f16 v7, v44, v7, v11
	v_pack_b32_f16 v3, v7, v3
	global_load_dword v7, v[0:1], off
	global_load_dword v33, v37, s[0:1] offset:2240
	v_mov_b32_e32 v11, s16
	v_add_co_u32_e32 v0, vcc, s20, v0
	v_addc_co_u32_e32 v1, vcc, v1, v11, vcc
	global_load_dword v11, v[0:1], off
	v_add_co_u32_e32 v0, vcc, s15, v0
	v_addc_co_u32_e32 v1, vcc, v1, v12, vcc
	global_load_dword v12, v[0:1], off
	global_load_dword v31, v37, s[0:1] offset:2464
	v_add_co_u32_e32 v0, vcc, s20, v0
	v_addc_co_u32_e32 v1, vcc, v1, v14, vcc
	global_load_dword v14, v[0:1], off
	v_add_co_u32_e32 v0, vcc, s15, v0
	v_addc_co_u32_e32 v1, vcc, v1, v15, vcc
	global_load_dword v15, v[0:1], off
	global_load_dword v27, v37, s[0:1] offset:2688
	;; [unrolled: 7-line block ×3, first 2 shown]
	s_waitcnt vmcnt(25)
	v_lshrrev_b32_e32 v10, 16, v8
	s_waitcnt vmcnt(24)
	v_mul_f16_sdwa v13, v42, v10 dst_sel:DWORD dst_unused:UNUSED_PAD src0_sel:WORD_1 src1_sel:DWORD
	v_fma_f16 v13, v42, v8, v13
	v_mul_f16_sdwa v8, v42, v8 dst_sel:DWORD dst_unused:UNUSED_PAD src0_sel:WORD_1 src1_sel:DWORD
	v_fma_f16 v0, v42, v10, -v8
	v_pack_b32_f16 v0, v13, v0
	ds_write_b32 v37, v0 offset:1568
	s_waitcnt vmcnt(15)
	v_lshrrev_b32_e32 v0, 16, v9
	v_mul_f16_sdwa v1, v41, v0 dst_sel:DWORD dst_unused:UNUSED_PAD src0_sel:WORD_1 src1_sel:DWORD
	v_mul_f16_sdwa v8, v41, v9 dst_sel:DWORD dst_unused:UNUSED_PAD src0_sel:WORD_1 src1_sel:DWORD
	v_fma_f16 v1, v41, v9, v1
	v_fma_f16 v0, v41, v0, -v8
	v_pack_b32_f16 v0, v1, v0
	ds_write2_b32 v37, v3, v0 offset1:56
	s_waitcnt vmcnt(14)
	v_lshrrev_b32_e32 v0, 16, v2
	v_mul_f16_sdwa v1, v40, v0 dst_sel:DWORD dst_unused:UNUSED_PAD src0_sel:WORD_1 src1_sel:DWORD
	v_fma_f16 v1, v40, v2, v1
	v_mul_f16_sdwa v2, v40, v2 dst_sel:DWORD dst_unused:UNUSED_PAD src0_sel:WORD_1 src1_sel:DWORD
	v_fma_f16 v0, v40, v0, -v2
	v_pack_b32_f16 v0, v1, v0
	s_waitcnt vmcnt(13)
	v_lshrrev_b32_e32 v1, 16, v6
	v_mul_f16_sdwa v2, v38, v1 dst_sel:DWORD dst_unused:UNUSED_PAD src0_sel:WORD_1 src1_sel:DWORD
	v_mul_f16_sdwa v3, v38, v6 dst_sel:DWORD dst_unused:UNUSED_PAD src0_sel:WORD_1 src1_sel:DWORD
	v_fma_f16 v2, v38, v6, v2
	v_fma_f16 v1, v38, v1, -v3
	v_pack_b32_f16 v1, v2, v1
	s_waitcnt vmcnt(12)
	v_lshrrev_b32_e32 v2, 16, v4
	v_mul_f16_sdwa v3, v35, v2 dst_sel:DWORD dst_unused:UNUSED_PAD src0_sel:WORD_1 src1_sel:DWORD
	v_fma_f16 v3, v35, v4, v3
	v_mul_f16_sdwa v4, v35, v4 dst_sel:DWORD dst_unused:UNUSED_PAD src0_sel:WORD_1 src1_sel:DWORD
	v_fma_f16 v2, v35, v2, -v4
	v_pack_b32_f16 v2, v3, v2
	ds_write2_b32 v45, v0, v2 offset0:192 offset1:248
	s_waitcnt vmcnt(11)
	v_lshrrev_b32_e32 v0, 16, v5
	v_mul_f16_sdwa v2, v32, v0 dst_sel:DWORD dst_unused:UNUSED_PAD src0_sel:WORD_1 src1_sel:DWORD
	v_mul_f16_sdwa v3, v32, v5 dst_sel:DWORD dst_unused:UNUSED_PAD src0_sel:WORD_1 src1_sel:DWORD
	v_fma_f16 v2, v32, v5, v2
	v_fma_f16 v0, v32, v0, -v3
	v_pack_b32_f16 v0, v2, v0
	ds_write2_b32 v37, v1, v0 offset0:112 offset1:168
	s_movk_i32 s16, 0x39e0
	s_waitcnt vmcnt(10)
	v_lshrrev_b32_e32 v0, 16, v7
	s_waitcnt vmcnt(9)
	v_mul_f16_sdwa v1, v33, v0 dst_sel:DWORD dst_unused:UNUSED_PAD src0_sel:WORD_1 src1_sel:DWORD
	v_mul_f16_sdwa v2, v33, v7 dst_sel:DWORD dst_unused:UNUSED_PAD src0_sel:WORD_1 src1_sel:DWORD
	v_fma_f16 v1, v33, v7, v1
	v_fma_f16 v0, v33, v0, -v2
	v_pack_b32_f16 v0, v1, v0
	s_waitcnt vmcnt(8)
	v_lshrrev_b32_e32 v1, 16, v11
	v_mul_f16_sdwa v2, v30, v1 dst_sel:DWORD dst_unused:UNUSED_PAD src0_sel:WORD_1 src1_sel:DWORD
	v_mul_f16_sdwa v3, v30, v11 dst_sel:DWORD dst_unused:UNUSED_PAD src0_sel:WORD_1 src1_sel:DWORD
	v_fma_f16 v2, v30, v11, v2
	v_fma_f16 v1, v30, v1, -v3
	v_pack_b32_f16 v1, v2, v1
	s_waitcnt vmcnt(7)
	v_lshrrev_b32_e32 v2, 16, v12
	s_waitcnt vmcnt(6)
	v_mul_f16_sdwa v3, v31, v2 dst_sel:DWORD dst_unused:UNUSED_PAD src0_sel:WORD_1 src1_sel:DWORD
	v_mul_f16_sdwa v4, v31, v12 dst_sel:DWORD dst_unused:UNUSED_PAD src0_sel:WORD_1 src1_sel:DWORD
	v_fma_f16 v3, v31, v12, v3
	v_fma_f16 v2, v31, v2, -v4
	v_pack_b32_f16 v2, v3, v2
	ds_write2_b32 v29, v0, v2 offset0:48 offset1:104
	s_waitcnt vmcnt(5)
	v_lshrrev_b32_e32 v0, 16, v14
	v_mul_f16_sdwa v2, v28, v0 dst_sel:DWORD dst_unused:UNUSED_PAD src0_sel:WORD_1 src1_sel:DWORD
	v_mul_f16_sdwa v3, v28, v14 dst_sel:DWORD dst_unused:UNUSED_PAD src0_sel:WORD_1 src1_sel:DWORD
	v_fma_f16 v2, v28, v14, v2
	v_fma_f16 v0, v28, v0, -v3
	v_pack_b32_f16 v0, v2, v0
	ds_write2_b32 v34, v1, v0 offset0:96 offset1:152
	s_waitcnt vmcnt(4)
	v_lshrrev_b32_e32 v0, 16, v15
	s_waitcnt vmcnt(3)
	v_mul_f16_sdwa v1, v27, v0 dst_sel:DWORD dst_unused:UNUSED_PAD src0_sel:WORD_1 src1_sel:DWORD
	v_mul_f16_sdwa v2, v27, v15 dst_sel:DWORD dst_unused:UNUSED_PAD src0_sel:WORD_1 src1_sel:DWORD
	v_fma_f16 v1, v27, v15, v1
	v_fma_f16 v0, v27, v0, -v2
	v_pack_b32_f16 v0, v1, v0
	s_waitcnt vmcnt(2)
	v_lshrrev_b32_e32 v1, 16, v17
	v_mul_f16_sdwa v2, v26, v1 dst_sel:DWORD dst_unused:UNUSED_PAD src0_sel:WORD_1 src1_sel:DWORD
	v_mul_f16_sdwa v3, v26, v17 dst_sel:DWORD dst_unused:UNUSED_PAD src0_sel:WORD_1 src1_sel:DWORD
	v_fma_f16 v2, v26, v17, v2
	v_fma_f16 v1, v26, v1, -v3
	v_pack_b32_f16 v1, v2, v1
	ds_write_b32 v37, v1 offset:1344
	s_waitcnt vmcnt(1)
	v_lshrrev_b32_e32 v1, 16, v18
	s_waitcnt vmcnt(0)
	v_mul_f16_sdwa v2, v25, v1 dst_sel:DWORD dst_unused:UNUSED_PAD src0_sel:WORD_1 src1_sel:DWORD
	v_mul_f16_sdwa v3, v25, v18 dst_sel:DWORD dst_unused:UNUSED_PAD src0_sel:WORD_1 src1_sel:DWORD
	v_fma_f16 v2, v25, v18, v2
	v_fma_f16 v1, v25, v1, -v3
	v_pack_b32_f16 v1, v2, v1
	ds_write2_b32 v29, v0, v1 offset0:160 offset1:216
	s_waitcnt lgkmcnt(0)
	; wave barrier
	s_waitcnt lgkmcnt(0)
	ds_read2_b32 v[1:2], v37 offset1:56
	ds_read2_b32 v[3:4], v45 offset0:80 offset1:136
	ds_read2_b32 v[5:6], v45 offset0:192 offset1:248
	;; [unrolled: 1-line block ×5, first 2 shown]
	s_waitcnt lgkmcnt(4)
	v_pk_add_f16 v8, v1, v4 neg_lo:[0,1] neg_hi:[0,1]
	s_waitcnt lgkmcnt(3)
	v_pk_add_f16 v5, v2, v5 neg_lo:[0,1] neg_hi:[0,1]
	v_pk_fma_f16 v7, v1, 2.0, v8 op_sel_hi:[1,0,1] neg_lo:[0,0,1] neg_hi:[0,0,1]
	v_pk_fma_f16 v4, v2, 2.0, v5 op_sel_hi:[1,0,1] neg_lo:[0,0,1] neg_hi:[0,0,1]
	ds_read2_b32 v[1:2], v29 offset0:48 offset1:104
	v_lshlrev_b32_e32 v0, 1, v43
	s_waitcnt lgkmcnt(3)
	v_pk_add_f16 v12, v9, v6 neg_lo:[0,1] neg_hi:[0,1]
	v_lshlrev_b32_e32 v50, 2, v0
	v_pk_fma_f16 v11, v9, 2.0, v12 op_sel_hi:[1,0,1] neg_lo:[0,0,1] neg_hi:[0,0,1]
	s_waitcnt lgkmcnt(0)
	v_pk_add_f16 v20, v10, v1 neg_lo:[0,1] neg_hi:[0,1]
	v_pk_fma_f16 v19, v10, 2.0, v20 op_sel_hi:[1,0,1] neg_lo:[0,0,1] neg_hi:[0,0,1]
	v_pk_add_f16 v2, v13, v2 neg_lo:[0,1] neg_hi:[0,1]
	v_pk_add_f16 v10, v14, v17 neg_lo:[0,1] neg_hi:[0,1]
	v_pk_fma_f16 v1, v13, 2.0, v2 op_sel_hi:[1,0,1] neg_lo:[0,0,1] neg_hi:[0,0,1]
	v_pk_fma_f16 v9, v14, 2.0, v10 op_sel_hi:[1,0,1] neg_lo:[0,0,1] neg_hi:[0,0,1]
	v_pk_add_f16 v14, v3, v18 neg_lo:[0,1] neg_hi:[0,1]
	v_add_u32_e32 v51, 0x400, v50
	v_and_b32_e32 v15, 1, v43
	v_pk_fma_f16 v13, v3, 2.0, v14 op_sel_hi:[1,0,1] neg_lo:[0,0,1] neg_hi:[0,0,1]
	s_waitcnt lgkmcnt(0)
	; wave barrier
	ds_write2_b64 v49, v[7:8], v[4:5] offset1:56
	ds_write2_b64 v50, v[11:12], v[19:20] offset0:112 offset1:168
	ds_write2_b64 v51, v[1:2], v[9:10] offset0:96 offset1:152
	ds_write_b64 v50, v[13:14] offset:2688
	v_lshlrev_b32_e32 v1, 2, v15
	s_waitcnt lgkmcnt(0)
	; wave barrier
	s_waitcnt lgkmcnt(0)
	global_load_dword v46, v1, s[2:3]
	ds_read2_b32 v[1:2], v37 offset1:56
	ds_read2_b32 v[3:4], v45 offset0:80 offset1:136
	ds_read2_b32 v[5:6], v45 offset0:192 offset1:248
	ds_read2_b32 v[7:8], v37 offset0:112 offset1:168
	ds_read2_b32 v[9:10], v29 offset0:48 offset1:104
	v_and_or_b32 v17, v0, s12, v15
	v_lshlrev_b32_e32 v52, 2, v17
	s_waitcnt lgkmcnt(4)
	v_lshrrev_b32_e32 v11, 16, v1
	s_waitcnt lgkmcnt(3)
	v_lshrrev_b32_e32 v12, 16, v4
	s_movk_i32 s12, 0xfc
	v_add_u32_e32 v18, 0xe0, v0
	v_add_u32_e32 v19, 0x150, v0
	;; [unrolled: 1-line block ×5, first 2 shown]
	s_waitcnt vmcnt(0)
	v_mul_f16_sdwa v13, v12, v46 dst_sel:DWORD dst_unused:UNUSED_PAD src0_sel:DWORD src1_sel:WORD_1
	v_fma_f16 v13, v4, v46, -v13
	v_mul_f16_sdwa v4, v4, v46 dst_sel:DWORD dst_unused:UNUSED_PAD src0_sel:DWORD src1_sel:WORD_1
	v_fma_f16 v4, v12, v46, v4
	v_sub_f16_e32 v13, v1, v13
	v_sub_f16_e32 v4, v11, v4
	v_fma_f16 v1, v1, 2.0, -v13
	v_fma_f16 v11, v11, 2.0, -v4
	v_pack_b32_f16 v1, v1, v11
	v_pack_b32_f16 v4, v13, v4
	ds_read2_b32 v[11:12], v34 offset0:96 offset1:152
	ds_read2_b32 v[13:14], v29 offset0:160 offset1:216
	s_waitcnt lgkmcnt(0)
	; wave barrier
	s_waitcnt lgkmcnt(0)
	ds_write2_b32 v52, v1, v4 offset1:2
	v_lshrrev_b32_e32 v1, 16, v5
	v_mul_f16_sdwa v4, v5, v46 dst_sel:DWORD dst_unused:UNUSED_PAD src0_sel:DWORD src1_sel:WORD_1
	v_fma_f16 v4, v1, v46, v4
	v_mul_f16_sdwa v1, v1, v46 dst_sel:DWORD dst_unused:UNUSED_PAD src0_sel:DWORD src1_sel:WORD_1
	v_fma_f16 v1, v5, v46, -v1
	v_lshrrev_b32_e32 v5, 16, v2
	v_sub_f16_e32 v1, v2, v1
	v_sub_f16_e32 v4, v5, v4
	v_fma_f16 v2, v2, 2.0, -v1
	v_fma_f16 v5, v5, 2.0, -v4
	v_pack_b32_f16 v1, v1, v4
	v_add_u32_e32 v4, 56, v43
	v_lshlrev_b32_e32 v17, 1, v4
	v_pack_b32_f16 v2, v2, v5
	v_and_or_b32 v5, v17, s12, v15
	v_lshlrev_b32_e32 v53, 2, v5
	ds_write2_b32 v53, v2, v1 offset1:2
	v_lshrrev_b32_e32 v1, 16, v6
	v_mul_f16_sdwa v2, v1, v46 dst_sel:DWORD dst_unused:UNUSED_PAD src0_sel:DWORD src1_sel:WORD_1
	v_mul_f16_sdwa v5, v6, v46 dst_sel:DWORD dst_unused:UNUSED_PAD src0_sel:DWORD src1_sel:WORD_1
	v_fma_f16 v2, v6, v46, -v2
	v_fma_f16 v1, v1, v46, v5
	v_lshrrev_b32_e32 v5, 16, v7
	v_sub_f16_e32 v2, v7, v2
	v_sub_f16_e32 v1, v5, v1
	s_movk_i32 s12, 0x1fc
	v_fma_f16 v5, v5, 2.0, -v1
	v_fma_f16 v6, v7, 2.0, -v2
	v_pack_b32_f16 v1, v2, v1
	v_and_or_b32 v2, v18, s12, v15
	v_pack_b32_f16 v5, v6, v5
	v_lshlrev_b32_e32 v54, 2, v2
	ds_write2_b32 v54, v5, v1 offset1:2
	v_lshrrev_b32_e32 v1, 16, v9
	v_mul_f16_sdwa v2, v9, v46 dst_sel:DWORD dst_unused:UNUSED_PAD src0_sel:DWORD src1_sel:WORD_1
	v_fma_f16 v2, v1, v46, v2
	v_mul_f16_sdwa v1, v1, v46 dst_sel:DWORD dst_unused:UNUSED_PAD src0_sel:DWORD src1_sel:WORD_1
	v_fma_f16 v1, v9, v46, -v1
	v_lshrrev_b32_e32 v5, 16, v8
	v_sub_f16_e32 v1, v8, v1
	v_sub_f16_e32 v2, v5, v2
	v_fma_f16 v6, v8, 2.0, -v1
	v_fma_f16 v5, v5, 2.0, -v2
	v_pack_b32_f16 v1, v1, v2
	v_and_or_b32 v2, v19, s12, v15
	v_pack_b32_f16 v5, v6, v5
	v_lshlrev_b32_e32 v55, 2, v2
	ds_write2_b32 v55, v5, v1 offset1:2
	v_lshrrev_b32_e32 v1, 16, v10
	v_mul_f16_sdwa v2, v1, v46 dst_sel:DWORD dst_unused:UNUSED_PAD src0_sel:DWORD src1_sel:WORD_1
	v_mul_f16_sdwa v5, v10, v46 dst_sel:DWORD dst_unused:UNUSED_PAD src0_sel:DWORD src1_sel:WORD_1
	v_fma_f16 v2, v10, v46, -v2
	v_fma_f16 v1, v1, v46, v5
	v_lshrrev_b32_e32 v5, 16, v11
	v_sub_f16_e32 v2, v11, v2
	v_sub_f16_e32 v1, v5, v1
	s_movk_i32 s12, 0x3fc
	v_fma_f16 v5, v5, 2.0, -v1
	v_fma_f16 v6, v11, 2.0, -v2
	v_pack_b32_f16 v1, v2, v1
	v_and_or_b32 v2, v20, s12, v15
	v_pack_b32_f16 v5, v6, v5
	v_lshlrev_b32_e32 v56, 2, v2
	ds_write2_b32 v56, v5, v1 offset1:2
	v_lshrrev_b32_e32 v1, 16, v13
	v_mul_f16_sdwa v2, v13, v46 dst_sel:DWORD dst_unused:UNUSED_PAD src0_sel:DWORD src1_sel:WORD_1
	v_fma_f16 v2, v1, v46, v2
	v_mul_f16_sdwa v1, v1, v46 dst_sel:DWORD dst_unused:UNUSED_PAD src0_sel:DWORD src1_sel:WORD_1
	v_fma_f16 v1, v13, v46, -v1
	v_lshrrev_b32_e32 v5, 16, v12
	v_sub_f16_e32 v1, v12, v1
	v_sub_f16_e32 v2, v5, v2
	v_fma_f16 v6, v12, 2.0, -v1
	v_fma_f16 v5, v5, 2.0, -v2
	v_pack_b32_f16 v1, v1, v2
	v_and_or_b32 v2, v21, s13, v15
	v_pack_b32_f16 v5, v6, v5
	v_lshlrev_b32_e32 v57, 2, v2
	ds_write2_b32 v57, v5, v1 offset1:2
	v_lshrrev_b32_e32 v1, 16, v14
	v_mul_f16_sdwa v2, v1, v46 dst_sel:DWORD dst_unused:UNUSED_PAD src0_sel:DWORD src1_sel:WORD_1
	v_mul_f16_sdwa v5, v14, v46 dst_sel:DWORD dst_unused:UNUSED_PAD src0_sel:DWORD src1_sel:WORD_1
	v_fma_f16 v2, v14, v46, -v2
	v_fma_f16 v1, v1, v46, v5
	v_lshrrev_b32_e32 v5, 16, v3
	v_sub_f16_e32 v2, v3, v2
	v_sub_f16_e32 v1, v5, v1
	v_fma_f16 v3, v3, 2.0, -v2
	v_fma_f16 v5, v5, 2.0, -v1
	v_pack_b32_f16 v1, v2, v1
	v_and_or_b32 v2, v22, s12, v15
	v_pack_b32_f16 v3, v3, v5
	v_lshlrev_b32_e32 v58, 2, v2
	v_and_b32_e32 v15, 3, v43
	ds_write2_b32 v58, v3, v1 offset1:2
	v_lshlrev_b32_e32 v1, 2, v15
	s_waitcnt lgkmcnt(0)
	; wave barrier
	s_waitcnt lgkmcnt(0)
	global_load_dword v47, v1, s[2:3] offset:8
	ds_read2_b32 v[1:2], v45 offset0:80 offset1:136
	ds_read2_b32 v[5:6], v37 offset1:56
	s_movk_i32 s12, 0x78
	v_and_or_b32 v24, v0, s12, v15
	v_lshlrev_b32_e32 v59, 2, v24
	s_waitcnt lgkmcnt(1)
	v_lshrrev_b32_e32 v3, 16, v2
	s_movk_i32 s12, 0xf8
	s_movk_i32 s13, 0x2f8
	v_and_b32_e32 v86, 15, v4
	v_mad_u64_u32 v[77:78], s[14:15], v86, 24, s[2:3]
	s_movk_i32 s14, 0x2b26
	s_mov_b32 s15, 0xb574
	v_lshrrev_b32_e32 v4, 4, v4
	v_mul_u32_u24_e32 v4, 0x70, v4
	v_or_b32_e32 v4, v4, v86
	s_waitcnt vmcnt(0)
	v_mul_f16_sdwa v7, v2, v47 dst_sel:DWORD dst_unused:UNUSED_PAD src0_sel:DWORD src1_sel:WORD_1
	v_fma_f16 v7, v3, v47, v7
	v_mul_f16_sdwa v3, v3, v47 dst_sel:DWORD dst_unused:UNUSED_PAD src0_sel:DWORD src1_sel:WORD_1
	v_fma_f16 v2, v2, v47, -v3
	s_waitcnt lgkmcnt(0)
	v_lshrrev_b32_e32 v3, 16, v5
	v_sub_f16_e32 v2, v5, v2
	v_sub_f16_e32 v7, v3, v7
	v_fma_f16 v3, v3, 2.0, -v7
	v_fma_f16 v5, v5, 2.0, -v2
	v_pack_b32_f16 v5, v5, v3
	v_pack_b32_f16 v23, v2, v7
	ds_read2_b32 v[2:3], v45 offset0:192 offset1:248
	ds_read2_b32 v[7:8], v37 offset0:112 offset1:168
	;; [unrolled: 1-line block ×5, first 2 shown]
	s_waitcnt lgkmcnt(0)
	; wave barrier
	s_waitcnt lgkmcnt(0)
	ds_write2_b32 v59, v5, v23 offset1:4
	v_lshrrev_b32_e32 v5, 16, v2
	v_mul_f16_sdwa v23, v2, v47 dst_sel:DWORD dst_unused:UNUSED_PAD src0_sel:DWORD src1_sel:WORD_1
	v_fma_f16 v23, v5, v47, v23
	v_mul_f16_sdwa v5, v5, v47 dst_sel:DWORD dst_unused:UNUSED_PAD src0_sel:DWORD src1_sel:WORD_1
	v_fma_f16 v2, v2, v47, -v5
	v_lshrrev_b32_e32 v5, 16, v6
	v_sub_f16_e32 v2, v6, v2
	v_sub_f16_e32 v23, v5, v23
	v_fma_f16 v6, v6, 2.0, -v2
	v_fma_f16 v5, v5, 2.0, -v23
	v_pack_b32_f16 v5, v6, v5
	v_and_or_b32 v6, v17, s12, v15
	v_pack_b32_f16 v2, v2, v23
	v_lshlrev_b32_e32 v60, 2, v6
	ds_write2_b32 v60, v5, v2 offset1:4
	v_lshrrev_b32_e32 v2, 16, v3
	v_mul_f16_sdwa v5, v2, v47 dst_sel:DWORD dst_unused:UNUSED_PAD src0_sel:DWORD src1_sel:WORD_1
	v_fma_f16 v5, v3, v47, -v5
	v_mul_f16_sdwa v3, v3, v47 dst_sel:DWORD dst_unused:UNUSED_PAD src0_sel:DWORD src1_sel:WORD_1
	v_fma_f16 v2, v2, v47, v3
	v_sub_f16_e32 v3, v7, v5
	v_lshrrev_b32_e32 v5, 16, v7
	v_sub_f16_e32 v2, v5, v2
	s_movk_i32 s12, 0x1f8
	v_fma_f16 v5, v5, 2.0, -v2
	v_fma_f16 v6, v7, 2.0, -v3
	v_pack_b32_f16 v2, v3, v2
	v_and_or_b32 v3, v18, s12, v15
	v_pack_b32_f16 v5, v6, v5
	v_lshlrev_b32_e32 v61, 2, v3
	ds_write2_b32 v61, v5, v2 offset1:4
	v_lshrrev_b32_e32 v2, 16, v9
	v_mul_f16_sdwa v3, v9, v47 dst_sel:DWORD dst_unused:UNUSED_PAD src0_sel:DWORD src1_sel:WORD_1
	v_fma_f16 v3, v2, v47, v3
	v_mul_f16_sdwa v2, v2, v47 dst_sel:DWORD dst_unused:UNUSED_PAD src0_sel:DWORD src1_sel:WORD_1
	v_fma_f16 v2, v9, v47, -v2
	v_lshrrev_b32_e32 v5, 16, v8
	v_sub_f16_e32 v2, v8, v2
	v_sub_f16_e32 v3, v5, v3
	v_fma_f16 v6, v8, 2.0, -v2
	v_fma_f16 v5, v5, 2.0, -v3
	v_pack_b32_f16 v2, v2, v3
	v_and_or_b32 v3, v19, s12, v15
	v_pack_b32_f16 v5, v6, v5
	v_lshlrev_b32_e32 v62, 2, v3
	ds_write2_b32 v62, v5, v2 offset1:4
	v_lshrrev_b32_e32 v2, 16, v10
	v_mul_f16_sdwa v3, v2, v47 dst_sel:DWORD dst_unused:UNUSED_PAD src0_sel:DWORD src1_sel:WORD_1
	v_mul_f16_sdwa v5, v10, v47 dst_sel:DWORD dst_unused:UNUSED_PAD src0_sel:DWORD src1_sel:WORD_1
	v_fma_f16 v3, v10, v47, -v3
	v_fma_f16 v2, v2, v47, v5
	v_lshrrev_b32_e32 v5, 16, v11
	v_sub_f16_e32 v3, v11, v3
	v_sub_f16_e32 v2, v5, v2
	s_movk_i32 s12, 0x3f8
	v_fma_f16 v5, v5, 2.0, -v2
	v_fma_f16 v6, v11, 2.0, -v3
	v_pack_b32_f16 v2, v3, v2
	v_and_or_b32 v3, v20, s12, v15
	v_pack_b32_f16 v5, v6, v5
	v_lshlrev_b32_e32 v63, 2, v3
	ds_write2_b32 v63, v5, v2 offset1:4
	v_lshrrev_b32_e32 v2, 16, v13
	v_mul_f16_sdwa v3, v13, v47 dst_sel:DWORD dst_unused:UNUSED_PAD src0_sel:DWORD src1_sel:WORD_1
	v_fma_f16 v3, v2, v47, v3
	v_mul_f16_sdwa v2, v2, v47 dst_sel:DWORD dst_unused:UNUSED_PAD src0_sel:DWORD src1_sel:WORD_1
	v_fma_f16 v2, v13, v47, -v2
	v_lshrrev_b32_e32 v5, 16, v12
	v_sub_f16_e32 v2, v12, v2
	v_sub_f16_e32 v3, v5, v3
	v_fma_f16 v6, v12, 2.0, -v2
	v_fma_f16 v5, v5, 2.0, -v3
	v_pack_b32_f16 v2, v2, v3
	v_and_or_b32 v3, v21, s13, v15
	v_pack_b32_f16 v5, v6, v5
	v_lshlrev_b32_e32 v64, 2, v3
	ds_write2_b32 v64, v5, v2 offset1:4
	v_lshrrev_b32_e32 v2, 16, v14
	v_mul_f16_sdwa v3, v2, v47 dst_sel:DWORD dst_unused:UNUSED_PAD src0_sel:DWORD src1_sel:WORD_1
	v_mul_f16_sdwa v5, v14, v47 dst_sel:DWORD dst_unused:UNUSED_PAD src0_sel:DWORD src1_sel:WORD_1
	v_fma_f16 v3, v14, v47, -v3
	v_fma_f16 v2, v2, v47, v5
	v_lshrrev_b32_e32 v5, 16, v1
	v_sub_f16_e32 v3, v1, v3
	v_sub_f16_e32 v2, v5, v2
	v_fma_f16 v1, v1, 2.0, -v3
	v_fma_f16 v5, v5, 2.0, -v2
	v_pack_b32_f16 v2, v3, v2
	v_and_or_b32 v3, v22, s12, v15
	v_pack_b32_f16 v1, v1, v5
	v_lshlrev_b32_e32 v65, 2, v3
	v_and_b32_e32 v15, 7, v43
	ds_write2_b32 v65, v1, v2 offset1:4
	v_lshlrev_b32_e32 v1, 2, v15
	s_waitcnt lgkmcnt(0)
	; wave barrier
	s_waitcnt lgkmcnt(0)
	global_load_dword v48, v1, s[2:3] offset:24
	ds_read2_b32 v[1:2], v45 offset0:80 offset1:136
	ds_read2_b32 v[5:6], v37 offset1:56
	s_movk_i32 s12, 0x70
	v_and_or_b32 v0, v0, s12, v15
	v_lshlrev_b32_e32 v66, 2, v0
	s_waitcnt lgkmcnt(1)
	v_lshrrev_b32_e32 v3, 16, v2
	s_movk_i32 s12, 0xf0
	s_movk_i32 s13, 0x2f0
	s_waitcnt vmcnt(0)
	v_mul_f16_sdwa v7, v2, v48 dst_sel:DWORD dst_unused:UNUSED_PAD src0_sel:DWORD src1_sel:WORD_1
	v_fma_f16 v7, v3, v48, v7
	v_mul_f16_sdwa v3, v3, v48 dst_sel:DWORD dst_unused:UNUSED_PAD src0_sel:DWORD src1_sel:WORD_1
	v_fma_f16 v2, v2, v48, -v3
	s_waitcnt lgkmcnt(0)
	v_lshrrev_b32_e32 v3, 16, v5
	v_sub_f16_e32 v2, v5, v2
	v_sub_f16_e32 v7, v3, v7
	v_fma_f16 v3, v3, 2.0, -v7
	v_fma_f16 v5, v5, 2.0, -v2
	v_pack_b32_f16 v5, v5, v3
	v_pack_b32_f16 v23, v2, v7
	ds_read2_b32 v[2:3], v45 offset0:192 offset1:248
	ds_read2_b32 v[7:8], v37 offset0:112 offset1:168
	;; [unrolled: 1-line block ×5, first 2 shown]
	s_waitcnt lgkmcnt(0)
	; wave barrier
	s_waitcnt lgkmcnt(0)
	ds_write2_b32 v66, v5, v23 offset1:8
	v_lshrrev_b32_e32 v0, 16, v2
	v_mul_f16_sdwa v5, v2, v48 dst_sel:DWORD dst_unused:UNUSED_PAD src0_sel:DWORD src1_sel:WORD_1
	v_fma_f16 v5, v0, v48, v5
	v_mul_f16_sdwa v0, v0, v48 dst_sel:DWORD dst_unused:UNUSED_PAD src0_sel:DWORD src1_sel:WORD_1
	v_fma_f16 v0, v2, v48, -v0
	v_lshrrev_b32_e32 v2, 16, v6
	v_sub_f16_e32 v0, v6, v0
	v_sub_f16_e32 v5, v2, v5
	v_fma_f16 v6, v6, 2.0, -v0
	v_fma_f16 v2, v2, 2.0, -v5
	v_pack_b32_f16 v0, v0, v5
	v_and_or_b32 v5, v17, s12, v15
	v_pack_b32_f16 v2, v6, v2
	v_lshlrev_b32_e32 v67, 2, v5
	ds_write2_b32 v67, v2, v0 offset1:8
	v_lshrrev_b32_e32 v0, 16, v3
	v_mul_f16_sdwa v2, v0, v48 dst_sel:DWORD dst_unused:UNUSED_PAD src0_sel:DWORD src1_sel:WORD_1
	v_fma_f16 v2, v3, v48, -v2
	v_mul_f16_sdwa v3, v3, v48 dst_sel:DWORD dst_unused:UNUSED_PAD src0_sel:DWORD src1_sel:WORD_1
	v_fma_f16 v0, v0, v48, v3
	v_lshrrev_b32_e32 v3, 16, v7
	v_sub_f16_e32 v2, v7, v2
	v_sub_f16_e32 v0, v3, v0
	s_movk_i32 s12, 0x1f0
	v_fma_f16 v3, v3, 2.0, -v0
	v_fma_f16 v5, v7, 2.0, -v2
	v_pack_b32_f16 v0, v2, v0
	v_and_or_b32 v2, v18, s12, v15
	v_pack_b32_f16 v3, v5, v3
	v_lshlrev_b32_e32 v68, 2, v2
	ds_write2_b32 v68, v3, v0 offset1:8
	v_lshrrev_b32_e32 v0, 16, v9
	v_mul_f16_sdwa v2, v9, v48 dst_sel:DWORD dst_unused:UNUSED_PAD src0_sel:DWORD src1_sel:WORD_1
	v_fma_f16 v2, v0, v48, v2
	v_mul_f16_sdwa v0, v0, v48 dst_sel:DWORD dst_unused:UNUSED_PAD src0_sel:DWORD src1_sel:WORD_1
	v_fma_f16 v0, v9, v48, -v0
	v_lshrrev_b32_e32 v3, 16, v8
	v_sub_f16_e32 v0, v8, v0
	v_sub_f16_e32 v2, v3, v2
	v_fma_f16 v5, v8, 2.0, -v0
	v_fma_f16 v3, v3, 2.0, -v2
	v_pack_b32_f16 v0, v0, v2
	v_and_or_b32 v2, v19, s12, v15
	v_pack_b32_f16 v3, v5, v3
	v_lshlrev_b32_e32 v69, 2, v2
	ds_write2_b32 v69, v3, v0 offset1:8
	v_lshrrev_b32_e32 v0, 16, v10
	v_mul_f16_sdwa v2, v0, v48 dst_sel:DWORD dst_unused:UNUSED_PAD src0_sel:DWORD src1_sel:WORD_1
	v_mul_f16_sdwa v3, v10, v48 dst_sel:DWORD dst_unused:UNUSED_PAD src0_sel:DWORD src1_sel:WORD_1
	v_fma_f16 v2, v10, v48, -v2
	v_fma_f16 v0, v0, v48, v3
	v_lshrrev_b32_e32 v3, 16, v11
	v_sub_f16_e32 v2, v11, v2
	v_sub_f16_e32 v0, v3, v0
	s_movk_i32 s12, 0x3f0
	v_fma_f16 v3, v3, 2.0, -v0
	v_fma_f16 v5, v11, 2.0, -v2
	v_pack_b32_f16 v0, v2, v0
	v_and_or_b32 v2, v20, s12, v15
	v_pack_b32_f16 v3, v5, v3
	v_lshlrev_b32_e32 v70, 2, v2
	ds_write2_b32 v70, v3, v0 offset1:8
	v_lshrrev_b32_e32 v0, 16, v13
	v_mul_f16_sdwa v2, v13, v48 dst_sel:DWORD dst_unused:UNUSED_PAD src0_sel:DWORD src1_sel:WORD_1
	v_fma_f16 v2, v0, v48, v2
	v_mul_f16_sdwa v0, v0, v48 dst_sel:DWORD dst_unused:UNUSED_PAD src0_sel:DWORD src1_sel:WORD_1
	v_fma_f16 v0, v13, v48, -v0
	v_lshrrev_b32_e32 v3, 16, v12
	v_sub_f16_e32 v0, v12, v0
	v_sub_f16_e32 v2, v3, v2
	v_fma_f16 v5, v12, 2.0, -v0
	v_fma_f16 v3, v3, 2.0, -v2
	v_pack_b32_f16 v0, v0, v2
	v_and_or_b32 v2, v21, s13, v15
	v_pack_b32_f16 v3, v5, v3
	v_lshlrev_b32_e32 v71, 2, v2
	ds_write2_b32 v71, v3, v0 offset1:8
	v_lshrrev_b32_e32 v0, 16, v14
	v_mul_f16_sdwa v2, v0, v48 dst_sel:DWORD dst_unused:UNUSED_PAD src0_sel:DWORD src1_sel:WORD_1
	v_mul_f16_sdwa v3, v14, v48 dst_sel:DWORD dst_unused:UNUSED_PAD src0_sel:DWORD src1_sel:WORD_1
	v_and_or_b32 v5, v22, s12, v15
	v_and_b32_e32 v11, 15, v43
	v_fma_f16 v2, v14, v48, -v2
	v_fma_f16 v0, v0, v48, v3
	v_lshrrev_b32_e32 v3, 16, v1
	v_lshlrev_b32_e32 v72, 2, v5
	v_mad_u64_u32 v[5:6], s[12:13], v11, 24, s[2:3]
	v_sub_f16_e32 v2, v1, v2
	v_sub_f16_e32 v0, v3, v0
	v_fma_f16 v1, v1, 2.0, -v2
	v_fma_f16 v3, v3, 2.0, -v0
	v_pack_b32_f16 v1, v1, v3
	v_pack_b32_f16 v0, v2, v0
	ds_write2_b32 v72, v1, v0 offset1:8
	s_waitcnt lgkmcnt(0)
	; wave barrier
	s_waitcnt lgkmcnt(0)
	global_load_dwordx4 v[0:3], v[5:6], off offset:56
	global_load_dwordx2 v[17:18], v[5:6], off offset:72
	ds_read2_b32 v[5:6], v37 offset0:112 offset1:168
	ds_read2_b32 v[7:8], v29 offset0:160 offset1:216
	ds_read2_b32 v[19:20], v29 offset0:48 offset1:104
	ds_read2_b32 v[21:22], v45 offset0:80 offset1:136
	ds_read2_b32 v[73:74], v45 offset0:192 offset1:248
	s_waitcnt lgkmcnt(4)
	v_lshrrev_b32_e32 v9, 16, v5
	ds_read2_b32 v[75:76], v37 offset1:56
	s_mov_b32 s12, 0xbcab
	s_movk_i32 s13, 0x3574
	s_waitcnt vmcnt(1)
	v_mul_f16_sdwa v10, v5, v0 dst_sel:DWORD dst_unused:UNUSED_PAD src0_sel:DWORD src1_sel:WORD_1
	v_fma_f16 v12, v9, v0, v10
	v_mul_f16_sdwa v9, v9, v0 dst_sel:DWORD dst_unused:UNUSED_PAD src0_sel:DWORD src1_sel:WORD_1
	v_fma_f16 v5, v5, v0, -v9
	s_waitcnt lgkmcnt(4)
	v_lshrrev_b32_e32 v9, 16, v7
	s_waitcnt vmcnt(0)
	v_mul_f16_sdwa v10, v7, v18 dst_sel:DWORD dst_unused:UNUSED_PAD src0_sel:DWORD src1_sel:WORD_1
	v_fma_f16 v13, v9, v18, v10
	v_mul_f16_sdwa v9, v9, v18 dst_sel:DWORD dst_unused:UNUSED_PAD src0_sel:DWORD src1_sel:WORD_1
	v_fma_f16 v7, v7, v18, -v9
	ds_read2_b32 v[9:10], v34 offset0:96 offset1:152
	v_add_f16_e32 v79, v5, v7
	v_sub_f16_e32 v5, v5, v7
	v_add_f16_e32 v7, v12, v13
	v_sub_f16_e32 v80, v12, v13
	s_waitcnt lgkmcnt(0)
	v_lshrrev_b32_e32 v12, 16, v9
	v_mul_f16_sdwa v13, v9, v1 dst_sel:DWORD dst_unused:UNUSED_PAD src0_sel:DWORD src1_sel:WORD_1
	v_fma_f16 v13, v12, v1, v13
	v_mul_f16_sdwa v12, v12, v1 dst_sel:DWORD dst_unused:UNUSED_PAD src0_sel:DWORD src1_sel:WORD_1
	v_fma_f16 v9, v9, v1, -v12
	v_lshrrev_b32_e32 v12, 16, v19
	v_mul_f16_sdwa v14, v19, v17 dst_sel:DWORD dst_unused:UNUSED_PAD src0_sel:DWORD src1_sel:WORD_1
	v_fma_f16 v14, v12, v17, v14
	v_mul_f16_sdwa v12, v12, v17 dst_sel:DWORD dst_unused:UNUSED_PAD src0_sel:DWORD src1_sel:WORD_1
	v_fma_f16 v12, v19, v17, -v12
	v_add_f16_e32 v19, v9, v12
	v_sub_f16_e32 v9, v9, v12
	v_add_f16_e32 v81, v13, v14
	v_sub_f16_e32 v82, v13, v14
	v_lshrrev_b32_e32 v12, 16, v21
	v_mul_f16_sdwa v13, v21, v2 dst_sel:DWORD dst_unused:UNUSED_PAD src0_sel:DWORD src1_sel:WORD_1
	v_lshrrev_b32_e32 v14, 16, v73
	v_mul_f16_sdwa v15, v73, v3 dst_sel:DWORD dst_unused:UNUSED_PAD src0_sel:DWORD src1_sel:WORD_1
	v_fma_f16 v13, v12, v2, v13
	v_mul_f16_sdwa v12, v12, v2 dst_sel:DWORD dst_unused:UNUSED_PAD src0_sel:DWORD src1_sel:WORD_1
	v_fma_f16 v15, v14, v3, v15
	v_mul_f16_sdwa v14, v14, v3 dst_sel:DWORD dst_unused:UNUSED_PAD src0_sel:DWORD src1_sel:WORD_1
	v_fma_f16 v12, v21, v2, -v12
	v_fma_f16 v14, v73, v3, -v14
	v_add_f16_e32 v21, v12, v14
	v_sub_f16_e32 v73, v14, v12
	v_lshrrev_b32_e32 v12, 4, v43
	v_mul_u32_u24_e32 v12, 0x70, v12
	v_or_b32_e32 v11, v12, v11
	v_add_f16_e32 v12, v19, v79
	v_add_f16_e32 v12, v21, v12
	v_add_f16_e32 v83, v13, v15
	v_sub_f16_e32 v84, v15, v13
	v_add_f16_e32 v13, v81, v7
	v_add_f16_e32 v87, v75, v12
	;; [unrolled: 1-line block ×3, first 2 shown]
	v_fma_f16 v88, v12, s12, v87
	global_load_dwordx2 v[23:24], v[77:78], off offset:72
	global_load_dwordx4 v[12:15], v[77:78], off offset:56
	v_add_f16_sdwa v75, v75, v85 dst_sel:DWORD dst_unused:UNUSED_PAD src0_sel:WORD_1 src1_sel:DWORD
	v_sub_f16_e32 v78, v79, v21
	v_fma_f16 v77, v85, s12, v75
	v_pack_b32_f16 v75, v87, v75
	v_sub_f16_e32 v21, v21, v19
	v_sub_f16_e32 v85, v7, v83
	v_add_f16_e32 v87, v73, v9
	v_sub_f16_e32 v89, v73, v9
	v_sub_f16_e32 v90, v5, v73
	v_add_f16_e32 v73, v84, v82
	v_mul_f16_e32 v78, 0x3a52, v78
	v_sub_f16_e32 v83, v83, v81
	v_add_f16_e32 v92, v73, v80
	v_mul_f16_e32 v85, 0x3a52, v85
	v_fma_f16 v73, v21, s14, v78
	v_sub_f16_e32 v91, v84, v82
	v_mul_f16_e32 v89, 0xb846, v89
	v_add_f16_e32 v93, v73, v88
	v_fma_f16 v73, v83, s14, v85
	v_sub_f16_e32 v84, v80, v84
	v_add_f16_e32 v87, v87, v5
	v_mul_f16_e32 v91, 0xb846, v91
	v_add_f16_e32 v94, v73, v77
	v_fma_f16 v73, v90, s13, v89
	v_fma_f16 v95, v87, s18, v73
	;; [unrolled: 1-line block ×4, first 2 shown]
	v_add_f16_e32 v73, v96, v93
	v_sub_f16_e32 v97, v94, v95
	v_pack_b32_f16 v97, v73, v97
	v_lshlrev_b32_e32 v73, 2, v11
	v_sub_f16_e32 v11, v19, v79
	v_sub_f16_e32 v5, v9, v5
	;; [unrolled: 1-line block ×3, first 2 shown]
	v_mul_f16_e32 v19, 0x2b26, v21
	s_waitcnt lgkmcnt(0)
	; wave barrier
	ds_write2_b32 v73, v75, v97 offset1:16
	v_sub_f16_e32 v7, v81, v7
	v_fma_f16 v19, v11, s16, -v19
	v_fma_f16 v11, v11, s17, -v78
	v_mul_f16_e32 v21, 0x2b26, v83
	v_fma_f16 v75, v5, s19, -v89
	v_mul_f16_e32 v5, 0xbb00, v5
	;; [unrolled: 2-line block ×3, first 2 shown]
	v_fma_f16 v21, v7, s16, -v21
	v_fma_f16 v7, v7, s17, -v85
	v_fma_f16 v5, v90, s15, v5
	v_fma_f16 v9, v84, s15, v9
	v_add_f16_e32 v11, v11, v88
	v_add_f16_e32 v7, v7, v77
	v_fma_f16 v5, v87, s18, v5
	v_fma_f16 v9, v92, s18, v9
	v_add_f16_e32 v19, v19, v88
	v_add_f16_e32 v21, v21, v77
	v_fma_f16 v75, v87, s18, v75
	v_fma_f16 v77, v92, s18, v78
	v_add_f16_e32 v78, v9, v11
	v_sub_f16_e32 v79, v7, v5
	v_pack_b32_f16 v78, v78, v79
	v_sub_f16_e32 v79, v19, v77
	v_add_f16_e32 v80, v75, v21
	v_add_f16_e32 v19, v77, v19
	v_sub_f16_e32 v21, v21, v75
	v_sub_f16_e32 v9, v11, v9
	v_add_f16_e32 v5, v5, v7
	v_pack_b32_f16 v7, v19, v21
	v_pack_b32_f16 v5, v9, v5
	ds_write2_b32 v73, v7, v5 offset0:64 offset1:80
	v_lshrrev_b32_e32 v5, 16, v6
	v_pack_b32_f16 v79, v79, v80
	ds_write2_b32 v73, v78, v79 offset0:32 offset1:48
	v_add_f16_e32 v77, v95, v94
	s_waitcnt vmcnt(0)
	v_mul_f16_sdwa v7, v5, v12 dst_sel:DWORD dst_unused:UNUSED_PAD src0_sel:DWORD src1_sel:WORD_1
	v_fma_f16 v7, v6, v12, -v7
	v_mul_f16_sdwa v6, v6, v12 dst_sel:DWORD dst_unused:UNUSED_PAD src0_sel:DWORD src1_sel:WORD_1
	v_fma_f16 v5, v5, v12, v6
	v_lshrrev_b32_e32 v6, 16, v10
	v_mul_f16_sdwa v9, v6, v13 dst_sel:DWORD dst_unused:UNUSED_PAD src0_sel:DWORD src1_sel:WORD_1
	v_fma_f16 v9, v10, v13, -v9
	v_mul_f16_sdwa v10, v10, v13 dst_sel:DWORD dst_unused:UNUSED_PAD src0_sel:DWORD src1_sel:WORD_1
	v_fma_f16 v6, v6, v13, v10
	v_lshrrev_b32_e32 v10, 16, v22
	v_mul_f16_sdwa v11, v10, v14 dst_sel:DWORD dst_unused:UNUSED_PAD src0_sel:DWORD src1_sel:WORD_1
	v_mul_f16_sdwa v19, v22, v14 dst_sel:DWORD dst_unused:UNUSED_PAD src0_sel:DWORD src1_sel:WORD_1
	v_fma_f16 v11, v22, v14, -v11
	v_fma_f16 v10, v10, v14, v19
	v_lshrrev_b32_e32 v19, 16, v74
	v_mul_f16_sdwa v22, v74, v15 dst_sel:DWORD dst_unused:UNUSED_PAD src0_sel:DWORD src1_sel:WORD_1
	v_mul_f16_sdwa v21, v19, v15 dst_sel:DWORD dst_unused:UNUSED_PAD src0_sel:DWORD src1_sel:WORD_1
	v_fma_f16 v19, v19, v15, v22
	v_lshrrev_b32_e32 v22, 16, v20
	v_fma_f16 v21, v74, v15, -v21
	v_mul_f16_sdwa v74, v22, v23 dst_sel:DWORD dst_unused:UNUSED_PAD src0_sel:DWORD src1_sel:WORD_1
	v_fma_f16 v74, v20, v23, -v74
	v_mul_f16_sdwa v20, v20, v23 dst_sel:DWORD dst_unused:UNUSED_PAD src0_sel:DWORD src1_sel:WORD_1
	v_fma_f16 v20, v22, v23, v20
	v_lshrrev_b32_e32 v22, 16, v8
	v_mul_f16_sdwa v75, v22, v24 dst_sel:DWORD dst_unused:UNUSED_PAD src0_sel:DWORD src1_sel:WORD_1
	v_fma_f16 v75, v8, v24, -v75
	v_mul_f16_sdwa v8, v8, v24 dst_sel:DWORD dst_unused:UNUSED_PAD src0_sel:DWORD src1_sel:WORD_1
	v_fma_f16 v8, v22, v24, v8
	v_add_f16_e32 v78, v7, v75
	v_sub_f16_e32 v7, v7, v75
	v_add_f16_e32 v75, v5, v8
	v_sub_f16_e32 v5, v5, v8
	v_add_f16_e32 v8, v9, v74
	v_add_f16_e32 v79, v6, v20
	v_sub_f16_e32 v9, v9, v74
	v_sub_f16_e32 v6, v6, v20
	v_add_f16_e32 v20, v11, v21
	v_sub_f16_e32 v11, v21, v11
	v_add_f16_e32 v21, v10, v19
	;; [unrolled: 2-line block ×3, first 2 shown]
	v_add_f16_e32 v74, v79, v75
	v_sub_f16_e32 v22, v93, v96
	v_add_f16_e32 v19, v20, v19
	v_add_f16_e32 v74, v21, v74
	;; [unrolled: 1-line block ×3, first 2 shown]
	v_add_f16_sdwa v76, v76, v74 dst_sel:DWORD dst_unused:UNUSED_PAD src0_sel:WORD_1 src1_sel:DWORD
	v_pack_b32_f16 v22, v22, v77
	ds_write_b32 v73, v22 offset:384
	v_fma_f16 v22, v74, s12, v76
	v_sub_f16_e32 v74, v78, v20
	v_sub_f16_e32 v20, v20, v8
	;; [unrolled: 1-line block ×3, first 2 shown]
	v_mul_f16_e32 v84, 0x3a52, v74
	v_fma_f16 v19, v19, s12, v80
	v_sub_f16_e32 v21, v21, v79
	v_sub_f16_e32 v81, v11, v9
	v_mul_f16_e32 v77, 0x3a52, v77
	v_fma_f16 v74, v20, s14, v84
	v_pack_b32_f16 v76, v80, v76
	v_add_f16_e32 v80, v11, v9
	v_sub_f16_e32 v11, v7, v11
	v_sub_f16_e32 v83, v10, v6
	v_mul_f16_e32 v81, 0xb846, v81
	v_add_f16_e32 v85, v74, v19
	v_fma_f16 v74, v21, s14, v77
	v_add_f16_e32 v82, v10, v6
	v_sub_f16_e32 v10, v5, v10
	v_add_f16_e32 v80, v80, v7
	v_mul_f16_e32 v83, 0xb846, v83
	v_add_f16_e32 v86, v74, v22
	v_fma_f16 v74, v11, s13, v81
	v_add_f16_e32 v82, v82, v5
	v_fma_f16 v87, v80, s18, v74
	v_fma_f16 v74, v10, s13, v83
	;; [unrolled: 1-line block ×3, first 2 shown]
	v_sub_f16_e32 v7, v9, v7
	v_add_f16_e32 v74, v88, v85
	v_sub_f16_e32 v89, v86, v87
	v_sub_f16_e32 v5, v6, v5
	v_mul_f16_e32 v6, 0x2b26, v20
	v_fma_f16 v20, v7, s19, -v81
	v_mul_f16_e32 v7, 0xbb00, v7
	v_pack_b32_f16 v89, v74, v89
	v_lshlrev_b32_e32 v74, 2, v4
	v_sub_f16_e32 v4, v8, v78
	v_sub_f16_e32 v8, v79, v75
	v_mul_f16_e32 v9, 0x2b26, v21
	v_fma_f16 v7, v11, s15, v7
	v_fma_f16 v11, v5, s19, -v83
	v_mul_f16_e32 v5, 0xbb00, v5
	v_fma_f16 v6, v4, s16, -v6
	v_fma_f16 v4, v4, s17, -v84
	;; [unrolled: 1-line block ×4, first 2 shown]
	v_fma_f16 v5, v10, s15, v5
	v_add_f16_e32 v4, v4, v19
	v_add_f16_e32 v8, v8, v22
	v_fma_f16 v7, v80, s18, v7
	v_fma_f16 v5, v82, s18, v5
	v_add_f16_e32 v6, v6, v19
	v_add_f16_e32 v9, v9, v22
	v_fma_f16 v10, v80, s18, v20
	v_fma_f16 v11, v82, s18, v11
	v_add_f16_e32 v19, v5, v4
	v_sub_f16_e32 v20, v8, v7
	ds_write2_b32 v74, v76, v89 offset1:16
	v_pack_b32_f16 v19, v19, v20
	v_sub_f16_e32 v20, v6, v11
	v_add_f16_e32 v21, v10, v9
	v_add_f16_e32 v6, v11, v6
	v_sub_f16_e32 v9, v9, v10
	v_sub_f16_e32 v4, v4, v5
	v_add_f16_e32 v5, v7, v8
	v_mad_u64_u32 v[75:76], s[2:3], v43, 24, s[2:3]
	v_pack_b32_f16 v6, v6, v9
	v_pack_b32_f16 v4, v4, v5
	ds_write2_b32 v74, v6, v4 offset0:64 offset1:80
	v_sub_f16_e32 v4, v85, v88
	v_add_f16_e32 v5, v87, v86
	v_pack_b32_f16 v20, v20, v21
	v_pack_b32_f16 v4, v4, v5
	ds_write2_b32 v74, v19, v20 offset0:32 offset1:48
	ds_write_b32 v74, v4 offset:384
	s_waitcnt lgkmcnt(0)
	; wave barrier
	s_waitcnt lgkmcnt(0)
	global_load_dwordx4 v[8:11], v[75:76], off offset:440
	global_load_dwordx4 v[4:7], v[75:76], off offset:1784
	global_load_dwordx2 v[21:22], v[75:76], off offset:456
	global_load_dwordx2 v[19:20], v[75:76], off offset:1800
	ds_read2_b32 v[75:76], v37 offset0:112 offset1:168
	s_mov_b32 s2, 0xa72f0539
	s_mov_b32 s3, 0x3f54e5e0
	s_waitcnt lgkmcnt(0)
	v_lshrrev_b32_e32 v77, 16, v75
	s_waitcnt vmcnt(3)
	v_mul_f16_sdwa v78, v75, v8 dst_sel:DWORD dst_unused:UNUSED_PAD src0_sel:DWORD src1_sel:WORD_1
	v_fma_f16 v79, v77, v8, v78
	v_mul_f16_sdwa v77, v77, v8 dst_sel:DWORD dst_unused:UNUSED_PAD src0_sel:DWORD src1_sel:WORD_1
	v_fma_f16 v80, v75, v8, -v77
	ds_read2_b32 v[77:78], v34 offset0:96 offset1:152
	v_lshrrev_b32_e32 v75, 16, v76
	s_waitcnt vmcnt(2)
	v_mul_f16_sdwa v81, v75, v4 dst_sel:DWORD dst_unused:UNUSED_PAD src0_sel:DWORD src1_sel:WORD_1
	v_fma_f16 v81, v76, v4, -v81
	v_mul_f16_sdwa v76, v76, v4 dst_sel:DWORD dst_unused:UNUSED_PAD src0_sel:DWORD src1_sel:WORD_1
	v_fma_f16 v82, v75, v4, v76
	s_waitcnt lgkmcnt(0)
	v_lshrrev_b32_e32 v75, 16, v77
	v_mul_f16_sdwa v76, v77, v9 dst_sel:DWORD dst_unused:UNUSED_PAD src0_sel:DWORD src1_sel:WORD_1
	v_fma_f16 v83, v75, v9, v76
	v_mul_f16_sdwa v75, v75, v9 dst_sel:DWORD dst_unused:UNUSED_PAD src0_sel:DWORD src1_sel:WORD_1
	v_fma_f16 v84, v77, v9, -v75
	ds_read2_b32 v[75:76], v45 offset0:80 offset1:136
	v_lshrrev_b32_e32 v77, 16, v78
	v_mul_f16_sdwa v85, v77, v5 dst_sel:DWORD dst_unused:UNUSED_PAD src0_sel:DWORD src1_sel:WORD_1
	v_fma_f16 v85, v78, v5, -v85
	v_mul_f16_sdwa v78, v78, v5 dst_sel:DWORD dst_unused:UNUSED_PAD src0_sel:DWORD src1_sel:WORD_1
	v_fma_f16 v86, v77, v5, v78
	s_waitcnt lgkmcnt(0)
	v_lshrrev_b32_e32 v77, 16, v75
	v_mul_f16_sdwa v78, v75, v10 dst_sel:DWORD dst_unused:UNUSED_PAD src0_sel:DWORD src1_sel:WORD_1
	v_fma_f16 v87, v77, v10, v78
	v_mul_f16_sdwa v77, v77, v10 dst_sel:DWORD dst_unused:UNUSED_PAD src0_sel:DWORD src1_sel:WORD_1
	v_fma_f16 v88, v75, v10, -v77
	ds_read2_b32 v[77:78], v45 offset0:192 offset1:248
	v_lshrrev_b32_e32 v75, 16, v76
	;; [unrolled: 12-line block ×3, first 2 shown]
	v_mul_f16_sdwa v93, v77, v7 dst_sel:DWORD dst_unused:UNUSED_PAD src0_sel:DWORD src1_sel:WORD_1
	v_fma_f16 v93, v78, v7, -v93
	v_mul_f16_sdwa v78, v78, v7 dst_sel:DWORD dst_unused:UNUSED_PAD src0_sel:DWORD src1_sel:WORD_1
	v_fma_f16 v94, v77, v7, v78
	s_waitcnt lgkmcnt(0)
	v_lshrrev_b32_e32 v77, 16, v75
	s_waitcnt vmcnt(1)
	v_mul_f16_sdwa v78, v75, v21 dst_sel:DWORD dst_unused:UNUSED_PAD src0_sel:DWORD src1_sel:WORD_1
	v_fma_f16 v95, v77, v21, v78
	v_mul_f16_sdwa v77, v77, v21 dst_sel:DWORD dst_unused:UNUSED_PAD src0_sel:DWORD src1_sel:WORD_1
	v_fma_f16 v75, v75, v21, -v77
	ds_read2_b32 v[77:78], v29 offset0:160 offset1:216
	v_lshrrev_b32_e32 v96, 16, v76
	s_waitcnt vmcnt(0)
	v_mul_f16_sdwa v97, v96, v19 dst_sel:DWORD dst_unused:UNUSED_PAD src0_sel:DWORD src1_sel:WORD_1
	v_fma_f16 v97, v76, v19, -v97
	v_mul_f16_sdwa v76, v76, v19 dst_sel:DWORD dst_unused:UNUSED_PAD src0_sel:DWORD src1_sel:WORD_1
	v_fma_f16 v96, v96, v19, v76
	s_waitcnt lgkmcnt(0)
	v_lshrrev_b32_e32 v76, 16, v77
	v_mul_f16_sdwa v98, v77, v22 dst_sel:DWORD dst_unused:UNUSED_PAD src0_sel:DWORD src1_sel:WORD_1
	v_fma_f16 v98, v76, v22, v98
	v_mul_f16_sdwa v76, v76, v22 dst_sel:DWORD dst_unused:UNUSED_PAD src0_sel:DWORD src1_sel:WORD_1
	v_fma_f16 v76, v77, v22, -v76
	v_lshrrev_b32_e32 v77, 16, v78
	v_mul_f16_sdwa v99, v77, v20 dst_sel:DWORD dst_unused:UNUSED_PAD src0_sel:DWORD src1_sel:WORD_1
	v_fma_f16 v99, v78, v20, -v99
	v_mul_f16_sdwa v78, v78, v20 dst_sel:DWORD dst_unused:UNUSED_PAD src0_sel:DWORD src1_sel:WORD_1
	v_fma_f16 v77, v77, v20, v78
	v_add_f16_e32 v78, v80, v76
	v_sub_f16_e32 v76, v80, v76
	v_add_f16_e32 v80, v79, v98
	v_sub_f16_e32 v79, v79, v98
	;; [unrolled: 2-line block ×7, first 2 shown]
	v_sub_f16_e32 v78, v78, v95
	v_sub_f16_e32 v98, v95, v98
	v_add_f16_e32 v91, v95, v91
	v_add_f16_e32 v95, v84, v80
	v_sub_f16_e32 v101, v84, v80
	v_sub_f16_e32 v80, v80, v92
	v_sub_f16_e32 v84, v92, v84
	v_add_f16_e32 v92, v92, v95
	v_add_f16_e32 v95, v88, v75
	v_sub_f16_e32 v102, v88, v75
	;; [unrolled: 5-line block ×3, first 2 shown]
	v_sub_f16_e32 v87, v79, v87
	v_sub_f16_e32 v83, v83, v79
	v_add_f16_e32 v79, v76, v79
	v_mul_f16_e32 v76, 0x3a52, v78
	v_mul_f16_e32 v78, 0x2b26, v98
	v_fma_f16 v98, v98, s14, v76
	v_fma_f16 v78, v100, s16, -v78
	v_fma_f16 v100, v100, s17, -v76
	v_mul_f16_e32 v76, 0x3a52, v80
	v_mul_f16_e32 v80, 0x2b26, v84
	v_fma_f16 v84, v84, s14, v76
	v_fma_f16 v80, v101, s16, -v80
	v_fma_f16 v101, v101, s17, -v76
	v_mul_f16_e32 v76, 0xb846, v102
	v_mul_f16_e32 v102, 0xbb00, v75
	v_fma_f16 v104, v75, s19, -v76
	v_fma_f16 v105, v88, s13, v76
	ds_read2_b32 v[75:76], v37 offset1:56
	v_fma_f16 v88, v88, s15, v102
	v_mul_f16_e32 v102, 0xb846, v103
	v_mul_f16_e32 v103, 0xbb00, v83
	v_fma_f16 v83, v83, s19, -v102
	v_fma_f16 v102, v87, s13, v102
	v_fma_f16 v87, v87, s15, v103
	s_waitcnt lgkmcnt(0)
	v_add_f16_e32 v103, v75, v91
	v_add_f16_sdwa v75, v75, v92 dst_sel:DWORD dst_unused:UNUSED_PAD src0_sel:WORD_1 src1_sel:DWORD
	v_fma_f16 v91, v91, s12, v103
	v_fma_f16 v92, v92, s12, v75
	v_add_f16_e32 v98, v98, v91
	v_add_f16_e32 v78, v78, v91
	;; [unrolled: 1-line block ×6, first 2 shown]
	v_fma_f16 v100, v95, s18, v105
	v_fma_f16 v101, v95, s18, v104
	;; [unrolled: 1-line block ×6, first 2 shown]
	v_sub_f16_e32 v87, v78, v83
	v_add_f16_e32 v78, v83, v78
	v_add_f16_e32 v83, v101, v80
	v_sub_f16_e32 v80, v80, v101
	v_add_f16_e32 v101, v79, v91
	v_sub_f16_e32 v79, v91, v79
	v_sub_f16_e32 v91, v92, v88
	v_add_f16_e32 v88, v88, v92
	v_add_f16_e32 v92, v95, v98
	v_sub_f16_e32 v95, v98, v95
	v_sub_f16_e32 v98, v84, v100
	v_add_f16_e32 v84, v100, v84
	v_add_f16_e32 v100, v81, v99
	v_add_f16_e32 v102, v85, v97
	v_add_f16_e32 v106, v82, v77
	v_add_f16_e32 v107, v86, v96
	v_add_f16_e32 v104, v89, v93
	v_add_f16_e32 v105, v102, v100
	v_add_f16_e32 v108, v90, v94
	v_add_f16_e32 v109, v107, v106
	v_pack_b32_f16 v78, v78, v80
	v_add_f16_e32 v105, v104, v105
	v_add_f16_e32 v109, v108, v109
	ds_write_b32 v37, v78 offset:1792
	v_pack_b32_f16 v78, v79, v88
	v_add_f16_e32 v110, v76, v105
	v_add_f16_sdwa v76, v76, v109 dst_sel:DWORD dst_unused:UNUSED_PAD src0_sel:WORD_1 src1_sel:DWORD
	v_pack_b32_f16 v83, v87, v83
	ds_write_b32 v37, v78 offset:2240
	v_pack_b32_f16 v78, v95, v84
	v_pack_b32_f16 v75, v103, v75
	;; [unrolled: 1-line block ×4, first 2 shown]
	ds_write_b32 v37, v83 offset:1344
	ds_write_b32 v37, v78 offset:2688
	v_pack_b32_f16 v78, v110, v76
	v_sub_f16_e32 v83, v100, v104
	v_sub_f16_e32 v84, v104, v102
	ds_write_b32 v37, v92 offset:448
	ds_write_b32 v37, v91 offset:896
	ds_write2_b32 v37, v75, v78 offset1:56
	v_sub_f16_e32 v75, v81, v99
	v_sub_f16_e32 v77, v82, v77
	;; [unrolled: 1-line block ×8, first 2 shown]
	v_mul_f16_e32 v83, 0x3a52, v83
	v_mul_f16_e32 v91, 0x2b26, v84
	v_sub_f16_e32 v81, v94, v90
	v_sub_f16_e32 v85, v107, v106
	v_add_f16_e32 v88, v80, v78
	v_sub_f16_e32 v89, v80, v78
	v_sub_f16_e32 v78, v78, v75
	v_fma_f16 v84, v84, s14, v83
	v_fma_f16 v91, v82, s16, -v91
	v_fma_f16 v82, v82, s17, -v83
	v_mul_f16_e32 v83, 0x3a52, v86
	v_mul_f16_e32 v86, 0x2b26, v87
	v_sub_f16_e32 v80, v75, v80
	v_add_f16_e32 v75, v88, v75
	v_add_f16_e32 v88, v81, v79
	v_sub_f16_e32 v90, v81, v79
	v_sub_f16_e32 v79, v79, v77
	v_fma_f16 v87, v87, s14, v83
	v_fma_f16 v86, v85, s16, -v86
	v_fma_f16 v83, v85, s17, -v83
	v_mul_f16_e32 v85, 0xb846, v89
	v_mul_f16_e32 v89, 0xbb00, v78
	v_sub_f16_e32 v81, v77, v81
	v_fma_f16 v78, v78, s19, -v85
	v_fma_f16 v85, v80, s13, v85
	v_fma_f16 v80, v80, s15, v89
	v_mul_f16_e32 v89, 0xb846, v90
	v_mul_f16_e32 v90, 0xbb00, v79
	v_add_f16_e32 v77, v88, v77
	v_fma_f16 v88, v105, s12, v110
	v_fma_f16 v76, v109, s12, v76
	v_fma_f16 v79, v79, s19, -v89
	v_fma_f16 v89, v81, s13, v89
	v_fma_f16 v81, v81, s15, v90
	v_add_f16_e32 v84, v84, v88
	v_add_f16_e32 v82, v82, v88
	;; [unrolled: 1-line block ×5, first 2 shown]
	v_fma_f16 v83, v75, s18, v85
	v_fma_f16 v78, v75, s18, v78
	;; [unrolled: 1-line block ×6, first 2 shown]
	v_add_f16_e32 v85, v78, v86
	v_sub_f16_e32 v78, v86, v78
	v_add_f16_e32 v86, v77, v82
	v_sub_f16_e32 v77, v82, v77
	v_sub_f16_e32 v82, v76, v75
	v_add_f16_e32 v75, v75, v76
	v_add_f16_e32 v76, v80, v84
	v_sub_f16_e32 v80, v84, v80
	v_sub_f16_e32 v84, v87, v83
	v_add_f16_e32 v90, v91, v88
	v_pack_b32_f16 v76, v76, v84
	v_sub_f16_e32 v81, v90, v79
	ds_write_b32 v37, v76 offset:672
	v_pack_b32_f16 v76, v86, v82
	v_add_f16_e32 v79, v79, v90
	v_add_f16_e32 v83, v83, v87
	ds_write_b32 v37, v76 offset:1120
	v_pack_b32_f16 v76, v81, v85
	v_pack_b32_f16 v75, v77, v75
	ds_write_b32 v37, v76 offset:1568
	v_pack_b32_f16 v76, v79, v78
	ds_write_b32 v37, v75 offset:2464
	;; [unrolled: 2-line block ×3, first 2 shown]
	ds_write_b32 v37, v75 offset:2912
	s_waitcnt lgkmcnt(0)
	; wave barrier
	s_waitcnt lgkmcnt(0)
	global_load_dword v77, v37, s[0:1] offset:3136
	global_load_dword v81, v37, s[6:7] offset:2016
	global_load_dword v82, v37, s[6:7] offset:2240
	global_load_dword v83, v37, s[6:7] offset:224
	global_load_dword v84, v37, s[6:7] offset:1792
	global_load_dword v85, v37, s[6:7] offset:1568
	global_load_dword v86, v37, s[6:7] offset:448
	global_load_dword v87, v37, s[6:7] offset:672
	global_load_dword v88, v37, s[6:7] offset:896
	global_load_dword v89, v37, s[6:7] offset:2464
	global_load_dword v90, v37, s[6:7] offset:1120
	global_load_dword v93, v37, s[6:7] offset:1344
	global_load_dword v91, v37, s[6:7] offset:2912
	global_load_dword v92, v37, s[6:7] offset:2688
	ds_read2_b32 v[75:76], v37 offset1:56
	s_mov_b32 s0, 0xb70e
	s_mov_b32 s1, 0xbb00
	s_movk_i32 s6, 0x1ff
	s_movk_i32 s7, 0xffe
	s_waitcnt lgkmcnt(0)
	v_lshrrev_b32_e32 v78, 16, v75
	s_waitcnt vmcnt(13)
	v_mul_f16_sdwa v79, v75, v77 dst_sel:DWORD dst_unused:UNUSED_PAD src0_sel:DWORD src1_sel:WORD_1
	v_fma_f16 v79, v78, v77, v79
	v_mul_f16_sdwa v78, v78, v77 dst_sel:DWORD dst_unused:UNUSED_PAD src0_sel:DWORD src1_sel:WORD_1
	v_fma_f16 v75, v75, v77, -v78
	v_pack_b32_f16 v75, v75, v79
	ds_write_b32 v37, v75
	ds_read2_b32 v[77:78], v45 offset0:192 offset1:248
	ds_read2_b32 v[79:80], v29 offset0:48 offset1:104
	s_waitcnt lgkmcnt(1)
	v_lshrrev_b32_e32 v75, 16, v78
	s_waitcnt vmcnt(12)
	v_mul_f16_sdwa v94, v78, v81 dst_sel:DWORD dst_unused:UNUSED_PAD src0_sel:DWORD src1_sel:WORD_1
	v_fma_f16 v94, v75, v81, v94
	v_mul_f16_sdwa v75, v75, v81 dst_sel:DWORD dst_unused:UNUSED_PAD src0_sel:DWORD src1_sel:WORD_1
	v_fma_f16 v75, v78, v81, -v75
	s_waitcnt lgkmcnt(0)
	v_lshrrev_b32_e32 v78, 16, v79
	s_waitcnt vmcnt(11)
	v_mul_f16_sdwa v81, v79, v82 dst_sel:DWORD dst_unused:UNUSED_PAD src0_sel:DWORD src1_sel:WORD_1
	v_fma_f16 v81, v78, v82, v81
	v_mul_f16_sdwa v78, v78, v82 dst_sel:DWORD dst_unused:UNUSED_PAD src0_sel:DWORD src1_sel:WORD_1
	v_fma_f16 v78, v79, v82, -v78
	v_pack_b32_f16 v75, v75, v94
	v_pack_b32_f16 v78, v78, v81
	v_add_u32_e32 v79, 0x600, v37
	ds_write2_b32 v79, v75, v78 offset0:120 offset1:176
	v_lshrrev_b32_e32 v75, 16, v76
	s_waitcnt vmcnt(10)
	v_mul_f16_sdwa v78, v75, v83 dst_sel:DWORD dst_unused:UNUSED_PAD src0_sel:DWORD src1_sel:WORD_1
	v_fma_f16 v78, v76, v83, -v78
	v_mul_f16_sdwa v76, v76, v83 dst_sel:DWORD dst_unused:UNUSED_PAD src0_sel:DWORD src1_sel:WORD_1
	v_fma_f16 v79, v75, v83, v76
	ds_read2_b32 v[75:76], v45 offset0:80 offset1:136
	v_lshrrev_b32_e32 v81, 16, v77
	s_waitcnt vmcnt(9)
	v_mul_f16_sdwa v82, v81, v84 dst_sel:DWORD dst_unused:UNUSED_PAD src0_sel:DWORD src1_sel:WORD_1
	v_fma_f16 v82, v77, v84, -v82
	v_mul_f16_sdwa v77, v77, v84 dst_sel:DWORD dst_unused:UNUSED_PAD src0_sel:DWORD src1_sel:WORD_1
	v_fma_f16 v81, v81, v84, v77
	s_waitcnt lgkmcnt(0)
	v_lshrrev_b32_e32 v77, 16, v76
	s_waitcnt vmcnt(8)
	v_mul_f16_sdwa v83, v76, v85 dst_sel:DWORD dst_unused:UNUSED_PAD src0_sel:DWORD src1_sel:WORD_1
	v_fma_f16 v83, v77, v85, v83
	v_mul_f16_sdwa v77, v77, v85 dst_sel:DWORD dst_unused:UNUSED_PAD src0_sel:DWORD src1_sel:WORD_1
	v_fma_f16 v84, v76, v85, -v77
	ds_read2_b32 v[76:77], v37 offset0:112 offset1:168
	v_pack_b32_f16 v83, v84, v83
	v_pack_b32_f16 v81, v82, v81
	ds_write2_b32 v45, v83, v81 offset0:136 offset1:192
	v_pack_b32_f16 v78, v78, v79
	s_waitcnt lgkmcnt(1)
	v_lshrrev_b32_e32 v79, 16, v76
	s_waitcnt vmcnt(7)
	v_mul_f16_sdwa v81, v76, v86 dst_sel:DWORD dst_unused:UNUSED_PAD src0_sel:DWORD src1_sel:WORD_1
	v_fma_f16 v81, v79, v86, v81
	v_mul_f16_sdwa v79, v79, v86 dst_sel:DWORD dst_unused:UNUSED_PAD src0_sel:DWORD src1_sel:WORD_1
	v_fma_f16 v76, v76, v86, -v79
	v_pack_b32_f16 v76, v76, v81
	ds_write2_b32 v37, v78, v76 offset0:56 offset1:112
	ds_read2_b32 v[78:79], v34 offset0:96 offset1:152
	v_lshrrev_b32_e32 v76, 16, v77
	s_waitcnt vmcnt(6)
	v_mul_f16_sdwa v81, v76, v87 dst_sel:DWORD dst_unused:UNUSED_PAD src0_sel:DWORD src1_sel:WORD_1
	v_fma_f16 v81, v77, v87, -v81
	v_mul_f16_sdwa v77, v77, v87 dst_sel:DWORD dst_unused:UNUSED_PAD src0_sel:DWORD src1_sel:WORD_1
	v_fma_f16 v76, v76, v87, v77
	v_pack_b32_f16 v76, v81, v76
	s_waitcnt lgkmcnt(0)
	v_lshrrev_b32_e32 v77, 16, v78
	s_waitcnt vmcnt(5)
	v_mul_f16_sdwa v81, v78, v88 dst_sel:DWORD dst_unused:UNUSED_PAD src0_sel:DWORD src1_sel:WORD_1
	v_fma_f16 v81, v77, v88, v81
	v_mul_f16_sdwa v77, v77, v88 dst_sel:DWORD dst_unused:UNUSED_PAD src0_sel:DWORD src1_sel:WORD_1
	v_fma_f16 v77, v78, v88, -v77
	v_pack_b32_f16 v77, v77, v81
	ds_write2_b32 v37, v76, v77 offset0:168 offset1:224
	v_lshrrev_b32_e32 v76, 16, v80
	s_waitcnt vmcnt(4)
	v_mul_f16_sdwa v77, v76, v89 dst_sel:DWORD dst_unused:UNUSED_PAD src0_sel:DWORD src1_sel:WORD_1
	v_fma_f16 v78, v80, v89, -v77
	v_mul_f16_sdwa v77, v80, v89 dst_sel:DWORD dst_unused:UNUSED_PAD src0_sel:DWORD src1_sel:WORD_1
	v_fma_f16 v80, v76, v89, v77
	ds_read2_b32 v[76:77], v29 offset0:160 offset1:216
	v_lshrrev_b32_e32 v81, 16, v79
	s_waitcnt vmcnt(3)
	v_mul_f16_sdwa v82, v81, v90 dst_sel:DWORD dst_unused:UNUSED_PAD src0_sel:DWORD src1_sel:WORD_1
	v_fma_f16 v82, v79, v90, -v82
	v_mul_f16_sdwa v79, v79, v90 dst_sel:DWORD dst_unused:UNUSED_PAD src0_sel:DWORD src1_sel:WORD_1
	v_fma_f16 v79, v81, v90, v79
	v_pack_b32_f16 v78, v78, v80
	s_waitcnt lgkmcnt(0)
	v_lshrrev_b32_e32 v80, 16, v76
	s_waitcnt vmcnt(0)
	v_mul_f16_sdwa v81, v76, v92 dst_sel:DWORD dst_unused:UNUSED_PAD src0_sel:DWORD src1_sel:WORD_1
	v_fma_f16 v81, v80, v92, v81
	v_mul_f16_sdwa v80, v80, v92 dst_sel:DWORD dst_unused:UNUSED_PAD src0_sel:DWORD src1_sel:WORD_1
	v_fma_f16 v76, v76, v92, -v80
	v_pack_b32_f16 v76, v76, v81
	ds_write2_b32 v29, v78, v76 offset0:104 offset1:160
	v_lshrrev_b32_e32 v76, 16, v75
	v_mul_f16_sdwa v78, v76, v93 dst_sel:DWORD dst_unused:UNUSED_PAD src0_sel:DWORD src1_sel:WORD_1
	v_fma_f16 v78, v75, v93, -v78
	v_mul_f16_sdwa v75, v75, v93 dst_sel:DWORD dst_unused:UNUSED_PAD src0_sel:DWORD src1_sel:WORD_1
	v_fma_f16 v75, v76, v93, v75
	v_pack_b32_f16 v76, v82, v79
	v_pack_b32_f16 v75, v78, v75
	ds_write2_b32 v45, v76, v75 offset0:24 offset1:80
	v_lshrrev_b32_e32 v75, 16, v77
	v_mul_f16_sdwa v76, v75, v91 dst_sel:DWORD dst_unused:UNUSED_PAD src0_sel:DWORD src1_sel:WORD_1
	v_fma_f16 v76, v77, v91, -v76
	v_mul_f16_sdwa v77, v77, v91 dst_sel:DWORD dst_unused:UNUSED_PAD src0_sel:DWORD src1_sel:WORD_1
	v_fma_f16 v75, v75, v91, v77
	v_pack_b32_f16 v75, v76, v75
	ds_write_b32 v37, v75 offset:2912
	s_waitcnt lgkmcnt(0)
	; wave barrier
	s_waitcnt lgkmcnt(0)
	ds_read2_b32 v[75:76], v37 offset1:56
	ds_read2_b32 v[77:78], v45 offset0:80 offset1:136
	ds_read2_b32 v[79:80], v45 offset0:192 offset1:248
	s_waitcnt lgkmcnt(1)
	v_pk_add_f16 v82, v75, v78 neg_lo:[0,1] neg_hi:[0,1]
	s_waitcnt lgkmcnt(0)
	v_pk_add_f16 v79, v76, v79 neg_lo:[0,1] neg_hi:[0,1]
	v_pk_fma_f16 v81, v75, 2.0, v82 op_sel_hi:[1,0,1] neg_lo:[0,0,1] neg_hi:[0,0,1]
	v_pk_fma_f16 v78, v76, 2.0, v79 op_sel_hi:[1,0,1] neg_lo:[0,0,1] neg_hi:[0,0,1]
	ds_read2_b32 v[75:76], v37 offset0:112 offset1:168
	ds_read2_b32 v[83:84], v29 offset0:48 offset1:104
	;; [unrolled: 1-line block ×4, first 2 shown]
	s_waitcnt lgkmcnt(0)
	; wave barrier
	s_waitcnt lgkmcnt(0)
	ds_write2_b64 v49, v[81:82], v[78:79] offset1:56
	v_pk_add_f16 v79, v75, v80 neg_lo:[0,1] neg_hi:[0,1]
	v_pk_add_f16 v81, v76, v83 neg_lo:[0,1] neg_hi:[0,1]
	v_pk_fma_f16 v78, v75, 2.0, v79 op_sel_hi:[1,0,1] neg_lo:[0,0,1] neg_hi:[0,0,1]
	v_pk_fma_f16 v80, v76, 2.0, v81 op_sel_hi:[1,0,1] neg_lo:[0,0,1] neg_hi:[0,0,1]
	ds_write2_b64 v50, v[78:79], v[80:81] offset0:112 offset1:168
	v_pk_add_f16 v76, v85, v84 neg_lo:[0,1] neg_hi:[0,1]
	v_pk_add_f16 v79, v86, v87 neg_lo:[0,1] neg_hi:[0,1]
	v_pk_fma_f16 v75, v85, 2.0, v76 op_sel_hi:[1,0,1] neg_lo:[0,0,1] neg_hi:[0,0,1]
	v_pk_fma_f16 v78, v86, 2.0, v79 op_sel_hi:[1,0,1] neg_lo:[0,0,1] neg_hi:[0,0,1]
	ds_write2_b64 v51, v[75:76], v[78:79] offset0:96 offset1:152
	v_pk_add_f16 v76, v77, v88 neg_lo:[0,1] neg_hi:[0,1]
	v_pk_fma_f16 v75, v77, 2.0, v76 op_sel_hi:[1,0,1] neg_lo:[0,0,1] neg_hi:[0,0,1]
	ds_write_b64 v50, v[75:76] offset:2688
	s_waitcnt lgkmcnt(0)
	; wave barrier
	s_waitcnt lgkmcnt(0)
	ds_read2_b32 v[49:50], v45 offset0:80 offset1:136
	ds_read2_b32 v[75:76], v37 offset1:56
	s_waitcnt lgkmcnt(1)
	v_lshrrev_b32_e32 v51, 16, v50
	v_mul_f16_sdwa v77, v46, v50 dst_sel:DWORD dst_unused:UNUSED_PAD src0_sel:WORD_1 src1_sel:DWORD
	v_fma_f16 v77, v46, v51, -v77
	v_mul_f16_sdwa v51, v46, v51 dst_sel:DWORD dst_unused:UNUSED_PAD src0_sel:WORD_1 src1_sel:DWORD
	v_fma_f16 v50, v46, v50, v51
	s_waitcnt lgkmcnt(0)
	v_lshrrev_b32_e32 v51, 16, v75
	v_sub_f16_e32 v50, v75, v50
	v_sub_f16_e32 v77, v51, v77
	v_fma_f16 v51, v51, 2.0, -v77
	v_fma_f16 v75, v75, 2.0, -v50
	v_pack_b32_f16 v75, v75, v51
	v_pack_b32_f16 v85, v50, v77
	ds_read2_b32 v[50:51], v45 offset0:192 offset1:248
	ds_read2_b32 v[77:78], v37 offset0:112 offset1:168
	;; [unrolled: 1-line block ×5, first 2 shown]
	s_waitcnt lgkmcnt(0)
	; wave barrier
	s_waitcnt lgkmcnt(0)
	ds_write2_b32 v52, v75, v85 offset1:2
	v_lshrrev_b32_e32 v52, 16, v50
	v_mul_f16_sdwa v75, v46, v50 dst_sel:DWORD dst_unused:UNUSED_PAD src0_sel:WORD_1 src1_sel:DWORD
	v_fma_f16 v75, v46, v52, -v75
	v_mul_f16_sdwa v52, v46, v52 dst_sel:DWORD dst_unused:UNUSED_PAD src0_sel:WORD_1 src1_sel:DWORD
	v_fma_f16 v50, v46, v50, v52
	v_lshrrev_b32_e32 v52, 16, v76
	v_sub_f16_e32 v50, v76, v50
	v_sub_f16_e32 v75, v52, v75
	v_fma_f16 v76, v76, 2.0, -v50
	v_fma_f16 v52, v52, 2.0, -v75
	v_pack_b32_f16 v52, v76, v52
	v_pack_b32_f16 v50, v50, v75
	ds_write2_b32 v53, v52, v50 offset1:2
	v_lshrrev_b32_e32 v50, 16, v51
	v_mul_f16_sdwa v52, v46, v50 dst_sel:DWORD dst_unused:UNUSED_PAD src0_sel:WORD_1 src1_sel:DWORD
	v_fma_f16 v52, v46, v51, v52
	v_mul_f16_sdwa v51, v46, v51 dst_sel:DWORD dst_unused:UNUSED_PAD src0_sel:WORD_1 src1_sel:DWORD
	v_fma_f16 v50, v46, v50, -v51
	v_sub_f16_e32 v51, v77, v52
	v_lshrrev_b32_e32 v52, 16, v77
	v_sub_f16_e32 v50, v52, v50
	v_fma_f16 v52, v52, 2.0, -v50
	v_fma_f16 v53, v77, 2.0, -v51
	v_pack_b32_f16 v52, v53, v52
	v_pack_b32_f16 v50, v51, v50
	ds_write2_b32 v54, v52, v50 offset1:2
	v_lshrrev_b32_e32 v50, 16, v79
	v_mul_f16_sdwa v51, v46, v79 dst_sel:DWORD dst_unused:UNUSED_PAD src0_sel:WORD_1 src1_sel:DWORD
	v_fma_f16 v51, v46, v50, -v51
	v_mul_f16_sdwa v50, v46, v50 dst_sel:DWORD dst_unused:UNUSED_PAD src0_sel:WORD_1 src1_sel:DWORD
	v_fma_f16 v50, v46, v79, v50
	v_lshrrev_b32_e32 v52, 16, v78
	v_sub_f16_e32 v50, v78, v50
	v_sub_f16_e32 v51, v52, v51
	v_fma_f16 v53, v78, 2.0, -v50
	v_fma_f16 v52, v52, 2.0, -v51
	v_pack_b32_f16 v52, v53, v52
	v_pack_b32_f16 v50, v50, v51
	ds_write2_b32 v55, v52, v50 offset1:2
	v_lshrrev_b32_e32 v50, 16, v80
	v_mul_f16_sdwa v51, v46, v50 dst_sel:DWORD dst_unused:UNUSED_PAD src0_sel:WORD_1 src1_sel:DWORD
	v_mul_f16_sdwa v52, v46, v80 dst_sel:DWORD dst_unused:UNUSED_PAD src0_sel:WORD_1 src1_sel:DWORD
	v_fma_f16 v51, v46, v80, v51
	v_fma_f16 v50, v46, v50, -v52
	v_lshrrev_b32_e32 v52, 16, v81
	v_sub_f16_e32 v51, v81, v51
	v_sub_f16_e32 v50, v52, v50
	v_fma_f16 v52, v52, 2.0, -v50
	v_fma_f16 v53, v81, 2.0, -v51
	v_pack_b32_f16 v52, v53, v52
	v_pack_b32_f16 v50, v51, v50
	ds_write2_b32 v56, v52, v50 offset1:2
	v_lshrrev_b32_e32 v50, 16, v83
	v_mul_f16_sdwa v51, v46, v83 dst_sel:DWORD dst_unused:UNUSED_PAD src0_sel:WORD_1 src1_sel:DWORD
	v_fma_f16 v51, v46, v50, -v51
	v_mul_f16_sdwa v50, v46, v50 dst_sel:DWORD dst_unused:UNUSED_PAD src0_sel:WORD_1 src1_sel:DWORD
	v_fma_f16 v50, v46, v83, v50
	v_lshrrev_b32_e32 v52, 16, v82
	v_sub_f16_e32 v50, v82, v50
	v_sub_f16_e32 v51, v52, v51
	v_fma_f16 v53, v82, 2.0, -v50
	v_fma_f16 v52, v52, 2.0, -v51
	v_pack_b32_f16 v52, v53, v52
	v_pack_b32_f16 v50, v50, v51
	ds_write2_b32 v57, v52, v50 offset1:2
	v_lshrrev_b32_e32 v50, 16, v84
	v_mul_f16_sdwa v51, v46, v50 dst_sel:DWORD dst_unused:UNUSED_PAD src0_sel:WORD_1 src1_sel:DWORD
	v_fma_f16 v51, v46, v84, v51
	v_mul_f16_sdwa v52, v46, v84 dst_sel:DWORD dst_unused:UNUSED_PAD src0_sel:WORD_1 src1_sel:DWORD
	v_fma_f16 v46, v46, v50, -v52
	v_sub_f16_e32 v50, v49, v51
	v_lshrrev_b32_e32 v51, 16, v49
	v_sub_f16_e32 v46, v51, v46
	v_fma_f16 v49, v49, 2.0, -v50
	v_fma_f16 v51, v51, 2.0, -v46
	v_pack_b32_f16 v49, v49, v51
	v_pack_b32_f16 v46, v50, v46
	ds_write2_b32 v58, v49, v46 offset1:2
	s_waitcnt lgkmcnt(0)
	; wave barrier
	s_waitcnt lgkmcnt(0)
	ds_read2_b32 v[49:50], v45 offset0:80 offset1:136
	ds_read2_b32 v[51:52], v37 offset1:56
	s_waitcnt lgkmcnt(1)
	v_lshrrev_b32_e32 v46, 16, v50
	v_mul_f16_sdwa v53, v47, v50 dst_sel:DWORD dst_unused:UNUSED_PAD src0_sel:WORD_1 src1_sel:DWORD
	v_fma_f16 v53, v47, v46, -v53
	v_mul_f16_sdwa v46, v47, v46 dst_sel:DWORD dst_unused:UNUSED_PAD src0_sel:WORD_1 src1_sel:DWORD
	v_fma_f16 v46, v47, v50, v46
	s_waitcnt lgkmcnt(0)
	v_lshrrev_b32_e32 v50, 16, v51
	v_sub_f16_e32 v46, v51, v46
	v_sub_f16_e32 v53, v50, v53
	v_fma_f16 v50, v50, 2.0, -v53
	v_fma_f16 v51, v51, 2.0, -v46
	v_pack_b32_f16 v77, v51, v50
	v_pack_b32_f16 v46, v46, v53
	ds_read2_b32 v[50:51], v45 offset0:192 offset1:248
	ds_read2_b32 v[53:54], v37 offset0:112 offset1:168
	;; [unrolled: 1-line block ×5, first 2 shown]
	s_waitcnt lgkmcnt(0)
	; wave barrier
	s_waitcnt lgkmcnt(0)
	ds_write2_b32 v59, v77, v46 offset1:4
	v_lshrrev_b32_e32 v46, 16, v50
	v_mul_f16_sdwa v59, v47, v50 dst_sel:DWORD dst_unused:UNUSED_PAD src0_sel:WORD_1 src1_sel:DWORD
	v_fma_f16 v59, v47, v46, -v59
	v_mul_f16_sdwa v46, v47, v46 dst_sel:DWORD dst_unused:UNUSED_PAD src0_sel:WORD_1 src1_sel:DWORD
	v_fma_f16 v46, v47, v50, v46
	v_lshrrev_b32_e32 v50, 16, v52
	v_sub_f16_e32 v46, v52, v46
	v_sub_f16_e32 v59, v50, v59
	v_fma_f16 v52, v52, 2.0, -v46
	v_fma_f16 v50, v50, 2.0, -v59
	v_pack_b32_f16 v50, v52, v50
	v_pack_b32_f16 v46, v46, v59
	ds_write2_b32 v60, v50, v46 offset1:4
	v_lshrrev_b32_e32 v46, 16, v51
	v_mul_f16_sdwa v50, v47, v46 dst_sel:DWORD dst_unused:UNUSED_PAD src0_sel:WORD_1 src1_sel:DWORD
	v_fma_f16 v50, v47, v51, v50
	v_mul_f16_sdwa v51, v47, v51 dst_sel:DWORD dst_unused:UNUSED_PAD src0_sel:WORD_1 src1_sel:DWORD
	v_fma_f16 v46, v47, v46, -v51
	v_lshrrev_b32_e32 v51, 16, v53
	v_sub_f16_e32 v50, v53, v50
	v_sub_f16_e32 v46, v51, v46
	v_fma_f16 v51, v51, 2.0, -v46
	v_fma_f16 v52, v53, 2.0, -v50
	v_pack_b32_f16 v51, v52, v51
	v_pack_b32_f16 v46, v50, v46
	ds_write2_b32 v61, v51, v46 offset1:4
	v_lshrrev_b32_e32 v46, 16, v55
	v_mul_f16_sdwa v50, v47, v55 dst_sel:DWORD dst_unused:UNUSED_PAD src0_sel:WORD_1 src1_sel:DWORD
	v_fma_f16 v50, v47, v46, -v50
	v_mul_f16_sdwa v46, v47, v46 dst_sel:DWORD dst_unused:UNUSED_PAD src0_sel:WORD_1 src1_sel:DWORD
	v_fma_f16 v46, v47, v55, v46
	v_lshrrev_b32_e32 v51, 16, v54
	v_sub_f16_e32 v46, v54, v46
	v_sub_f16_e32 v50, v51, v50
	v_fma_f16 v52, v54, 2.0, -v46
	v_fma_f16 v51, v51, 2.0, -v50
	v_pack_b32_f16 v51, v52, v51
	v_pack_b32_f16 v46, v46, v50
	ds_write2_b32 v62, v51, v46 offset1:4
	v_lshrrev_b32_e32 v46, 16, v56
	v_mul_f16_sdwa v50, v47, v46 dst_sel:DWORD dst_unused:UNUSED_PAD src0_sel:WORD_1 src1_sel:DWORD
	v_mul_f16_sdwa v51, v47, v56 dst_sel:DWORD dst_unused:UNUSED_PAD src0_sel:WORD_1 src1_sel:DWORD
	v_fma_f16 v50, v47, v56, v50
	v_fma_f16 v46, v47, v46, -v51
	v_lshrrev_b32_e32 v51, 16, v57
	v_sub_f16_e32 v50, v57, v50
	v_sub_f16_e32 v46, v51, v46
	v_fma_f16 v51, v51, 2.0, -v46
	v_fma_f16 v52, v57, 2.0, -v50
	v_pack_b32_f16 v51, v52, v51
	v_pack_b32_f16 v46, v50, v46
	ds_write2_b32 v63, v51, v46 offset1:4
	v_lshrrev_b32_e32 v46, 16, v75
	v_mul_f16_sdwa v50, v47, v75 dst_sel:DWORD dst_unused:UNUSED_PAD src0_sel:WORD_1 src1_sel:DWORD
	v_fma_f16 v50, v47, v46, -v50
	v_mul_f16_sdwa v46, v47, v46 dst_sel:DWORD dst_unused:UNUSED_PAD src0_sel:WORD_1 src1_sel:DWORD
	v_fma_f16 v46, v47, v75, v46
	v_lshrrev_b32_e32 v51, 16, v58
	v_sub_f16_e32 v46, v58, v46
	v_sub_f16_e32 v50, v51, v50
	v_fma_f16 v52, v58, 2.0, -v46
	v_fma_f16 v51, v51, 2.0, -v50
	v_pack_b32_f16 v51, v52, v51
	v_pack_b32_f16 v46, v46, v50
	ds_write2_b32 v64, v51, v46 offset1:4
	v_lshrrev_b32_e32 v46, 16, v76
	v_mul_f16_sdwa v50, v47, v46 dst_sel:DWORD dst_unused:UNUSED_PAD src0_sel:WORD_1 src1_sel:DWORD
	v_fma_f16 v50, v47, v76, v50
	v_mul_f16_sdwa v51, v47, v76 dst_sel:DWORD dst_unused:UNUSED_PAD src0_sel:WORD_1 src1_sel:DWORD
	v_fma_f16 v46, v47, v46, -v51
	v_sub_f16_e32 v47, v49, v50
	v_lshrrev_b32_e32 v50, 16, v49
	v_sub_f16_e32 v46, v50, v46
	v_fma_f16 v49, v49, 2.0, -v47
	v_fma_f16 v50, v50, 2.0, -v46
	v_pack_b32_f16 v49, v49, v50
	v_pack_b32_f16 v46, v47, v46
	ds_write2_b32 v65, v49, v46 offset1:4
	s_waitcnt lgkmcnt(0)
	; wave barrier
	s_waitcnt lgkmcnt(0)
	ds_read2_b32 v[46:47], v45 offset0:80 offset1:136
	ds_read2_b32 v[49:50], v37 offset1:56
	s_waitcnt lgkmcnt(1)
	v_lshrrev_b32_e32 v51, 16, v47
	v_mul_f16_sdwa v52, v48, v47 dst_sel:DWORD dst_unused:UNUSED_PAD src0_sel:WORD_1 src1_sel:DWORD
	v_fma_f16 v52, v48, v51, -v52
	v_mul_f16_sdwa v51, v48, v51 dst_sel:DWORD dst_unused:UNUSED_PAD src0_sel:WORD_1 src1_sel:DWORD
	v_fma_f16 v47, v48, v47, v51
	s_waitcnt lgkmcnt(0)
	v_lshrrev_b32_e32 v51, 16, v49
	v_sub_f16_e32 v47, v49, v47
	v_sub_f16_e32 v52, v51, v52
	v_fma_f16 v51, v51, 2.0, -v52
	v_fma_f16 v49, v49, 2.0, -v47
	v_pack_b32_f16 v49, v49, v51
	v_pack_b32_f16 v47, v47, v52
	ds_read2_b32 v[51:52], v45 offset0:192 offset1:248
	ds_read2_b32 v[53:54], v37 offset0:112 offset1:168
	;; [unrolled: 1-line block ×5, first 2 shown]
	s_waitcnt lgkmcnt(0)
	; wave barrier
	s_waitcnt lgkmcnt(0)
	ds_write2_b32 v66, v49, v47 offset1:8
	v_lshrrev_b32_e32 v47, 16, v51
	v_mul_f16_sdwa v49, v48, v51 dst_sel:DWORD dst_unused:UNUSED_PAD src0_sel:WORD_1 src1_sel:DWORD
	v_fma_f16 v49, v48, v47, -v49
	v_mul_f16_sdwa v47, v48, v47 dst_sel:DWORD dst_unused:UNUSED_PAD src0_sel:WORD_1 src1_sel:DWORD
	v_fma_f16 v47, v48, v51, v47
	v_lshrrev_b32_e32 v51, 16, v50
	v_sub_f16_e32 v47, v50, v47
	v_sub_f16_e32 v49, v51, v49
	v_fma_f16 v50, v50, 2.0, -v47
	v_fma_f16 v51, v51, 2.0, -v49
	v_pack_b32_f16 v50, v50, v51
	v_pack_b32_f16 v47, v47, v49
	ds_write2_b32 v67, v50, v47 offset1:8
	v_lshrrev_b32_e32 v47, 16, v52
	v_mul_f16_sdwa v49, v48, v47 dst_sel:DWORD dst_unused:UNUSED_PAD src0_sel:WORD_1 src1_sel:DWORD
	v_mul_f16_sdwa v50, v48, v52 dst_sel:DWORD dst_unused:UNUSED_PAD src0_sel:WORD_1 src1_sel:DWORD
	v_fma_f16 v49, v48, v52, v49
	v_fma_f16 v47, v48, v47, -v50
	v_lshrrev_b32_e32 v50, 16, v53
	v_sub_f16_e32 v49, v53, v49
	v_sub_f16_e32 v47, v50, v47
	v_fma_f16 v50, v50, 2.0, -v47
	v_fma_f16 v51, v53, 2.0, -v49
	v_pack_b32_f16 v50, v51, v50
	v_pack_b32_f16 v47, v49, v47
	ds_write2_b32 v68, v50, v47 offset1:8
	v_lshrrev_b32_e32 v47, 16, v55
	v_mul_f16_sdwa v49, v48, v55 dst_sel:DWORD dst_unused:UNUSED_PAD src0_sel:WORD_1 src1_sel:DWORD
	v_fma_f16 v49, v48, v47, -v49
	v_mul_f16_sdwa v47, v48, v47 dst_sel:DWORD dst_unused:UNUSED_PAD src0_sel:WORD_1 src1_sel:DWORD
	v_fma_f16 v47, v48, v55, v47
	v_lshrrev_b32_e32 v50, 16, v54
	v_sub_f16_e32 v47, v54, v47
	v_sub_f16_e32 v49, v50, v49
	v_fma_f16 v51, v54, 2.0, -v47
	v_fma_f16 v50, v50, 2.0, -v49
	v_pack_b32_f16 v50, v51, v50
	v_pack_b32_f16 v47, v47, v49
	ds_write2_b32 v69, v50, v47 offset1:8
	v_lshrrev_b32_e32 v47, 16, v56
	v_mul_f16_sdwa v49, v48, v47 dst_sel:DWORD dst_unused:UNUSED_PAD src0_sel:WORD_1 src1_sel:DWORD
	v_mul_f16_sdwa v50, v48, v56 dst_sel:DWORD dst_unused:UNUSED_PAD src0_sel:WORD_1 src1_sel:DWORD
	v_fma_f16 v49, v48, v56, v49
	v_fma_f16 v47, v48, v47, -v50
	v_lshrrev_b32_e32 v50, 16, v57
	v_sub_f16_e32 v49, v57, v49
	v_sub_f16_e32 v47, v50, v47
	v_fma_f16 v50, v50, 2.0, -v47
	v_fma_f16 v51, v57, 2.0, -v49
	v_pack_b32_f16 v50, v51, v50
	v_pack_b32_f16 v47, v49, v47
	ds_write2_b32 v70, v50, v47 offset1:8
	v_lshrrev_b32_e32 v47, 16, v59
	v_mul_f16_sdwa v49, v48, v59 dst_sel:DWORD dst_unused:UNUSED_PAD src0_sel:WORD_1 src1_sel:DWORD
	v_fma_f16 v49, v48, v47, -v49
	v_mul_f16_sdwa v47, v48, v47 dst_sel:DWORD dst_unused:UNUSED_PAD src0_sel:WORD_1 src1_sel:DWORD
	v_fma_f16 v47, v48, v59, v47
	v_lshrrev_b32_e32 v50, 16, v58
	v_sub_f16_e32 v47, v58, v47
	v_sub_f16_e32 v49, v50, v49
	v_fma_f16 v51, v58, 2.0, -v47
	v_fma_f16 v50, v50, 2.0, -v49
	v_pack_b32_f16 v50, v51, v50
	v_pack_b32_f16 v47, v47, v49
	ds_write2_b32 v71, v50, v47 offset1:8
	v_lshrrev_b32_e32 v47, 16, v60
	v_mul_f16_sdwa v49, v48, v47 dst_sel:DWORD dst_unused:UNUSED_PAD src0_sel:WORD_1 src1_sel:DWORD
	v_fma_f16 v49, v48, v60, v49
	v_mul_f16_sdwa v50, v48, v60 dst_sel:DWORD dst_unused:UNUSED_PAD src0_sel:WORD_1 src1_sel:DWORD
	v_fma_f16 v47, v48, v47, -v50
	v_sub_f16_e32 v48, v46, v49
	v_lshrrev_b32_e32 v49, 16, v46
	v_sub_f16_e32 v47, v49, v47
	v_fma_f16 v46, v46, 2.0, -v48
	v_fma_f16 v49, v49, 2.0, -v47
	v_pack_b32_f16 v46, v46, v49
	v_pack_b32_f16 v47, v48, v47
	ds_write2_b32 v72, v46, v47 offset1:8
	s_waitcnt lgkmcnt(0)
	; wave barrier
	s_waitcnt lgkmcnt(0)
	ds_read2_b32 v[46:47], v37 offset0:112 offset1:168
	ds_read2_b32 v[48:49], v34 offset0:96 offset1:152
	s_waitcnt lgkmcnt(1)
	v_lshrrev_b32_e32 v50, 16, v46
	v_mul_f16_sdwa v51, v0, v46 dst_sel:DWORD dst_unused:UNUSED_PAD src0_sel:WORD_1 src1_sel:DWORD
	v_fma_f16 v52, v0, v50, -v51
	v_mul_f16_sdwa v50, v0, v50 dst_sel:DWORD dst_unused:UNUSED_PAD src0_sel:WORD_1 src1_sel:DWORD
	v_fma_f16 v46, v0, v46, v50
	s_waitcnt lgkmcnt(0)
	v_lshrrev_b32_e32 v0, 16, v48
	ds_read2_b32 v[50:51], v45 offset0:80 offset1:136
	v_mul_f16_sdwa v53, v1, v48 dst_sel:DWORD dst_unused:UNUSED_PAD src0_sel:WORD_1 src1_sel:DWORD
	v_fma_f16 v53, v1, v0, -v53
	v_mul_f16_sdwa v0, v1, v0 dst_sel:DWORD dst_unused:UNUSED_PAD src0_sel:WORD_1 src1_sel:DWORD
	v_fma_f16 v48, v1, v48, v0
	ds_read2_b32 v[0:1], v45 offset0:192 offset1:248
	s_waitcnt lgkmcnt(1)
	v_lshrrev_b32_e32 v54, 16, v50
	v_mul_f16_sdwa v55, v2, v50 dst_sel:DWORD dst_unused:UNUSED_PAD src0_sel:WORD_1 src1_sel:DWORD
	v_fma_f16 v55, v2, v54, -v55
	v_mul_f16_sdwa v54, v2, v54 dst_sel:DWORD dst_unused:UNUSED_PAD src0_sel:WORD_1 src1_sel:DWORD
	v_fma_f16 v50, v2, v50, v54
	s_waitcnt lgkmcnt(0)
	v_lshrrev_b32_e32 v2, 16, v0
	v_mul_f16_sdwa v54, v3, v0 dst_sel:DWORD dst_unused:UNUSED_PAD src0_sel:WORD_1 src1_sel:DWORD
	v_fma_f16 v54, v3, v2, -v54
	v_mul_f16_sdwa v2, v3, v2 dst_sel:DWORD dst_unused:UNUSED_PAD src0_sel:WORD_1 src1_sel:DWORD
	v_fma_f16 v56, v3, v0, v2
	v_lshrrev_b32_e32 v0, 16, v47
	v_mul_f16_sdwa v2, v12, v0 dst_sel:DWORD dst_unused:UNUSED_PAD src0_sel:WORD_1 src1_sel:DWORD
	v_fma_f16 v57, v12, v47, v2
	v_mul_f16_sdwa v2, v12, v47 dst_sel:DWORD dst_unused:UNUSED_PAD src0_sel:WORD_1 src1_sel:DWORD
	v_fma_f16 v12, v12, v0, -v2
	v_lshrrev_b32_e32 v0, 16, v49
	v_mul_f16_sdwa v2, v13, v0 dst_sel:DWORD dst_unused:UNUSED_PAD src0_sel:WORD_1 src1_sel:DWORD
	v_fma_f16 v47, v13, v49, v2
	v_mul_f16_sdwa v2, v13, v49 dst_sel:DWORD dst_unused:UNUSED_PAD src0_sel:WORD_1 src1_sel:DWORD
	v_fma_f16 v13, v13, v0, -v2
	;; [unrolled: 5-line block ×3, first 2 shown]
	v_lshrrev_b32_e32 v0, 16, v1
	ds_read2_b32 v[2:3], v29 offset0:48 offset1:104
	v_mul_f16_sdwa v51, v15, v0 dst_sel:DWORD dst_unused:UNUSED_PAD src0_sel:WORD_1 src1_sel:DWORD
	v_fma_f16 v51, v15, v1, v51
	v_mul_f16_sdwa v1, v15, v1 dst_sel:DWORD dst_unused:UNUSED_PAD src0_sel:WORD_1 src1_sel:DWORD
	v_fma_f16 v15, v15, v0, -v1
	ds_read2_b32 v[0:1], v29 offset0:160 offset1:216
	s_waitcnt lgkmcnt(1)
	v_lshrrev_b32_e32 v58, 16, v2
	v_mul_f16_sdwa v59, v17, v2 dst_sel:DWORD dst_unused:UNUSED_PAD src0_sel:WORD_1 src1_sel:DWORD
	v_fma_f16 v59, v17, v58, -v59
	v_mul_f16_sdwa v58, v17, v58 dst_sel:DWORD dst_unused:UNUSED_PAD src0_sel:WORD_1 src1_sel:DWORD
	v_fma_f16 v2, v17, v2, v58
	s_waitcnt lgkmcnt(0)
	v_lshrrev_b32_e32 v17, 16, v0
	v_mul_f16_sdwa v58, v18, v0 dst_sel:DWORD dst_unused:UNUSED_PAD src0_sel:WORD_1 src1_sel:DWORD
	v_fma_f16 v58, v18, v17, -v58
	v_mul_f16_sdwa v17, v18, v17 dst_sel:DWORD dst_unused:UNUSED_PAD src0_sel:WORD_1 src1_sel:DWORD
	v_fma_f16 v0, v18, v0, v17
	v_lshrrev_b32_e32 v17, 16, v3
	v_mul_f16_sdwa v18, v23, v17 dst_sel:DWORD dst_unused:UNUSED_PAD src0_sel:WORD_1 src1_sel:DWORD
	v_fma_f16 v18, v23, v3, v18
	v_mul_f16_sdwa v3, v23, v3 dst_sel:DWORD dst_unused:UNUSED_PAD src0_sel:WORD_1 src1_sel:DWORD
	v_fma_f16 v3, v23, v17, -v3
	v_lshrrev_b32_e32 v17, 16, v1
	v_mul_f16_sdwa v23, v24, v17 dst_sel:DWORD dst_unused:UNUSED_PAD src0_sel:WORD_1 src1_sel:DWORD
	v_fma_f16 v23, v24, v1, v23
	v_mul_f16_sdwa v1, v24, v1 dst_sel:DWORD dst_unused:UNUSED_PAD src0_sel:WORD_1 src1_sel:DWORD
	v_fma_f16 v17, v24, v17, -v1
	v_add_f16_e32 v24, v46, v0
	v_sub_f16_e32 v46, v46, v0
	ds_read2_b32 v[0:1], v37 offset1:56
	v_add_f16_e32 v60, v52, v58
	v_sub_f16_e32 v52, v52, v58
	v_add_f16_e32 v58, v48, v2
	v_sub_f16_e32 v2, v48, v2
	;; [unrolled: 2-line block ×5, first 2 shown]
	v_add_f16_e32 v55, v58, v24
	v_add_f16_e32 v61, v48, v60
	;; [unrolled: 1-line block ×4, first 2 shown]
	s_waitcnt lgkmcnt(0)
	v_add_f16_e32 v62, v0, v55
	v_add_f16_sdwa v0, v0, v61 dst_sel:DWORD dst_unused:UNUSED_PAD src0_sel:WORD_1 src1_sel:DWORD
	v_fma_f16 v55, v55, s12, v62
	v_fma_f16 v61, v61, s12, v0
	v_pack_b32_f16 v0, v62, v0
	v_sub_f16_e32 v62, v24, v59
	v_sub_f16_e32 v63, v60, v56
	;; [unrolled: 1-line block ×6, first 2 shown]
	v_add_f16_e32 v64, v50, v2
	v_sub_f16_e32 v50, v46, v50
	v_add_f16_e32 v66, v54, v53
	v_sub_f16_e32 v54, v52, v54
	v_mul_f16_e32 v62, 0x3a52, v62
	v_mul_f16_e32 v63, 0x3a52, v63
	;; [unrolled: 1-line block ×4, first 2 shown]
	v_add_f16_e32 v64, v64, v46
	v_add_f16_e32 v66, v66, v52
	v_fma_f16 v68, v59, s14, v62
	v_fma_f16 v69, v56, s14, v63
	;; [unrolled: 1-line block ×4, first 2 shown]
	v_add_f16_e32 v68, v68, v55
	v_add_f16_e32 v69, v69, v61
	v_fma_f16 v70, v64, s0, v70
	v_fma_f16 v71, v66, s0, v71
	v_add_f16_e32 v72, v71, v68
	v_sub_f16_e32 v75, v69, v70
	v_sub_f16_e32 v2, v2, v46
	v_pack_b32_f16 v72, v72, v75
	v_sub_f16_e32 v46, v53, v52
	v_fma_f16 v53, v2, s1, -v65
	v_mul_f16_e32 v2, 0x3b00, v2
	s_waitcnt lgkmcnt(0)
	; wave barrier
	ds_write2_b32 v73, v0, v72 offset1:16
	v_sub_f16_e32 v0, v58, v24
	v_sub_f16_e32 v24, v48, v60
	v_mul_f16_e32 v48, 0x2b26, v59
	v_mul_f16_e32 v52, 0x2b26, v56
	v_fma_f16 v2, v50, s13, v2
	v_fma_f16 v50, v46, s1, -v67
	v_mul_f16_e32 v46, 0x3b00, v46
	v_fma_f16 v48, v0, s16, -v48
	v_fma_f16 v0, v0, s17, -v62
	;; [unrolled: 1-line block ×4, first 2 shown]
	v_fma_f16 v46, v54, s13, v46
	v_add_f16_e32 v0, v0, v55
	v_add_f16_e32 v24, v24, v61
	v_fma_f16 v2, v64, s0, v2
	v_fma_f16 v46, v66, s0, v46
	v_add_f16_e32 v48, v48, v55
	v_add_f16_e32 v52, v52, v61
	v_fma_f16 v53, v64, s0, v53
	v_fma_f16 v50, v66, s0, v50
	v_add_f16_e32 v54, v46, v0
	v_sub_f16_e32 v55, v24, v2
	v_pack_b32_f16 v54, v54, v55
	v_sub_f16_e32 v55, v48, v50
	v_add_f16_e32 v48, v50, v48
	v_sub_f16_e32 v50, v52, v53
	v_sub_f16_e32 v0, v0, v46
	v_add_f16_e32 v2, v2, v24
	v_pack_b32_f16 v24, v48, v50
	v_pack_b32_f16 v0, v0, v2
	ds_write2_b32 v73, v24, v0 offset0:64 offset1:80
	v_sub_f16_e32 v0, v68, v71
	v_add_f16_e32 v2, v70, v69
	v_pack_b32_f16 v0, v0, v2
	ds_write_b32 v73, v0 offset:384
	v_add_f16_e32 v0, v57, v23
	v_sub_f16_e32 v2, v57, v23
	v_add_f16_e32 v23, v12, v17
	v_sub_f16_e32 v12, v12, v17
	v_add_f16_e32 v17, v47, v18
	v_add_f16_e32 v24, v13, v3
	v_sub_f16_e32 v18, v47, v18
	v_sub_f16_e32 v3, v13, v3
	v_add_f16_e32 v13, v49, v51
	v_add_f16_e32 v47, v14, v15
	v_sub_f16_e32 v14, v15, v14
	v_add_f16_e32 v15, v17, v0
	v_add_f16_e32 v48, v24, v23
	v_add_f16_e32 v56, v53, v52
	v_add_f16_e32 v15, v13, v15
	v_add_f16_e32 v48, v47, v48
	v_pack_b32_f16 v55, v55, v56
	v_sub_f16_e32 v46, v51, v49
	v_add_f16_e32 v49, v1, v15
	v_add_f16_sdwa v1, v1, v48 dst_sel:DWORD dst_unused:UNUSED_PAD src0_sel:WORD_1 src1_sel:DWORD
	ds_write2_b32 v73, v54, v55 offset0:32 offset1:48
	v_fma_f16 v15, v15, s12, v49
	v_fma_f16 v48, v48, s12, v1
	v_pack_b32_f16 v1, v49, v1
	v_sub_f16_e32 v49, v0, v13
	v_sub_f16_e32 v50, v23, v47
	;; [unrolled: 1-line block ×6, first 2 shown]
	v_add_f16_e32 v51, v46, v18
	v_sub_f16_e32 v46, v2, v46
	v_add_f16_e32 v53, v14, v3
	v_sub_f16_e32 v14, v12, v14
	v_mul_f16_e32 v49, 0x3a52, v49
	v_mul_f16_e32 v50, 0x3a52, v50
	;; [unrolled: 1-line block ×4, first 2 shown]
	v_add_f16_e32 v51, v51, v2
	v_add_f16_e32 v53, v53, v12
	v_fma_f16 v55, v13, s14, v49
	v_fma_f16 v56, v47, s14, v50
	v_fma_f16 v57, v46, s15, v52
	v_fma_f16 v58, v14, s15, v54
	v_add_f16_e32 v55, v55, v15
	v_add_f16_e32 v56, v56, v48
	v_fma_f16 v57, v51, s0, v57
	v_fma_f16 v58, v53, s0, v58
	v_add_f16_e32 v59, v58, v55
	v_sub_f16_e32 v60, v56, v57
	v_pack_b32_f16 v59, v59, v60
	v_sub_f16_e32 v2, v18, v2
	v_sub_f16_e32 v3, v3, v12
	ds_write2_b32 v74, v1, v59 offset1:16
	v_sub_f16_e32 v0, v17, v0
	v_sub_f16_e32 v1, v24, v23
	v_mul_f16_e32 v12, 0x2b26, v13
	v_mul_f16_e32 v13, 0x2b26, v47
	v_fma_f16 v17, v2, s1, -v52
	v_mul_f16_e32 v2, 0x3b00, v2
	v_fma_f16 v18, v3, s1, -v54
	;; [unrolled: 2-line block ×3, first 2 shown]
	v_fma_f16 v0, v0, s17, -v49
	v_fma_f16 v13, v1, s16, -v13
	;; [unrolled: 1-line block ×3, first 2 shown]
	v_fma_f16 v2, v46, s13, v2
	v_fma_f16 v3, v14, s13, v3
	v_add_f16_e32 v12, v12, v15
	v_add_f16_e32 v0, v0, v15
	;; [unrolled: 1-line block ×4, first 2 shown]
	v_fma_f16 v14, v51, s0, v17
	v_fma_f16 v2, v51, s0, v2
	;; [unrolled: 1-line block ×4, first 2 shown]
	v_sub_f16_e32 v17, v12, v15
	v_add_f16_e32 v12, v15, v12
	v_add_f16_e32 v15, v14, v13
	v_sub_f16_e32 v13, v13, v14
	v_add_f16_e32 v14, v3, v0
	v_sub_f16_e32 v0, v0, v3
	v_sub_f16_e32 v3, v1, v2
	v_add_f16_e32 v1, v2, v1
	v_pack_b32_f16 v3, v14, v3
	v_pack_b32_f16 v14, v17, v15
	v_sub_f16_e32 v2, v55, v58
	v_add_f16_e32 v18, v57, v56
	ds_write2_b32 v74, v3, v14 offset0:32 offset1:48
	v_pack_b32_f16 v3, v12, v13
	v_pack_b32_f16 v0, v0, v1
	ds_write2_b32 v74, v3, v0 offset0:64 offset1:80
	v_pack_b32_f16 v0, v2, v18
	ds_write_b32 v74, v0 offset:384
	s_waitcnt lgkmcnt(0)
	; wave barrier
	s_waitcnt lgkmcnt(0)
	ds_read2_b32 v[0:1], v37 offset0:112 offset1:168
	ds_read2_b32 v[2:3], v34 offset0:96 offset1:152
	s_waitcnt lgkmcnt(1)
	v_lshrrev_b32_e32 v12, 16, v0
	v_mul_f16_sdwa v13, v8, v12 dst_sel:DWORD dst_unused:UNUSED_PAD src0_sel:WORD_1 src1_sel:DWORD
	s_waitcnt lgkmcnt(0)
	v_lshrrev_b32_e32 v14, 16, v2
	v_fma_f16 v15, v8, v0, v13
	v_mul_f16_sdwa v0, v8, v0 dst_sel:DWORD dst_unused:UNUSED_PAD src0_sel:WORD_1 src1_sel:DWORD
	v_fma_f16 v17, v8, v12, -v0
	ds_read2_b32 v[12:13], v45 offset0:80 offset1:136
	v_mul_f16_sdwa v0, v9, v14 dst_sel:DWORD dst_unused:UNUSED_PAD src0_sel:WORD_1 src1_sel:DWORD
	v_fma_f16 v18, v9, v2, v0
	v_mul_f16_sdwa v0, v9, v2 dst_sel:DWORD dst_unused:UNUSED_PAD src0_sel:WORD_1 src1_sel:DWORD
	v_fma_f16 v14, v9, v14, -v0
	ds_read2_b32 v[8:9], v45 offset0:192 offset1:248
	s_waitcnt lgkmcnt(1)
	v_lshrrev_b32_e32 v0, 16, v12
	v_mul_f16_sdwa v2, v10, v12 dst_sel:DWORD dst_unused:UNUSED_PAD src0_sel:WORD_1 src1_sel:DWORD
	v_fma_f16 v23, v10, v0, -v2
	v_mul_f16_sdwa v0, v10, v0 dst_sel:DWORD dst_unused:UNUSED_PAD src0_sel:WORD_1 src1_sel:DWORD
	v_fma_f16 v10, v10, v12, v0
	s_waitcnt lgkmcnt(0)
	v_lshrrev_b32_e32 v0, 16, v8
	v_mul_f16_sdwa v2, v11, v8 dst_sel:DWORD dst_unused:UNUSED_PAD src0_sel:WORD_1 src1_sel:DWORD
	v_fma_f16 v12, v11, v0, -v2
	v_mul_f16_sdwa v0, v11, v0 dst_sel:DWORD dst_unused:UNUSED_PAD src0_sel:WORD_1 src1_sel:DWORD
	v_fma_f16 v8, v11, v8, v0
	v_lshrrev_b32_e32 v0, 16, v1
	v_mul_f16_sdwa v2, v4, v0 dst_sel:DWORD dst_unused:UNUSED_PAD src0_sel:WORD_1 src1_sel:DWORD
	v_fma_f16 v11, v4, v1, v2
	v_mul_f16_sdwa v1, v4, v1 dst_sel:DWORD dst_unused:UNUSED_PAD src0_sel:WORD_1 src1_sel:DWORD
	v_fma_f16 v4, v4, v0, -v1
	v_lshrrev_b32_e32 v0, 16, v3
	v_mul_f16_sdwa v1, v5, v0 dst_sel:DWORD dst_unused:UNUSED_PAD src0_sel:WORD_1 src1_sel:DWORD
	v_fma_f16 v24, v5, v3, v1
	v_mul_f16_sdwa v1, v5, v3 dst_sel:DWORD dst_unused:UNUSED_PAD src0_sel:WORD_1 src1_sel:DWORD
	v_fma_f16 v5, v5, v0, -v1
	v_lshrrev_b32_e32 v0, 16, v13
	v_mul_f16_sdwa v1, v6, v0 dst_sel:DWORD dst_unused:UNUSED_PAD src0_sel:WORD_1 src1_sel:DWORD
	v_fma_f16 v46, v6, v13, v1
	v_mul_f16_sdwa v1, v6, v13 dst_sel:DWORD dst_unused:UNUSED_PAD src0_sel:WORD_1 src1_sel:DWORD
	v_lshrrev_b32_e32 v2, 16, v9
	v_fma_f16 v6, v6, v0, -v1
	ds_read2_b32 v[0:1], v29 offset0:48 offset1:104
	v_mul_f16_sdwa v3, v7, v2 dst_sel:DWORD dst_unused:UNUSED_PAD src0_sel:WORD_1 src1_sel:DWORD
	v_fma_f16 v13, v7, v9, v3
	v_mul_f16_sdwa v3, v7, v9 dst_sel:DWORD dst_unused:UNUSED_PAD src0_sel:WORD_1 src1_sel:DWORD
	v_fma_f16 v7, v7, v2, -v3
	ds_read2_b32 v[2:3], v29 offset0:160 offset1:216
	s_waitcnt lgkmcnt(1)
	v_lshrrev_b32_e32 v9, 16, v0
	v_mul_f16_sdwa v47, v21, v0 dst_sel:DWORD dst_unused:UNUSED_PAD src0_sel:WORD_1 src1_sel:DWORD
	v_fma_f16 v47, v21, v9, -v47
	v_mul_f16_sdwa v9, v21, v9 dst_sel:DWORD dst_unused:UNUSED_PAD src0_sel:WORD_1 src1_sel:DWORD
	v_fma_f16 v0, v21, v0, v9
	s_waitcnt lgkmcnt(0)
	v_lshrrev_b32_e32 v9, 16, v2
	v_mul_f16_sdwa v21, v22, v2 dst_sel:DWORD dst_unused:UNUSED_PAD src0_sel:WORD_1 src1_sel:DWORD
	v_fma_f16 v21, v22, v9, -v21
	v_mul_f16_sdwa v9, v22, v9 dst_sel:DWORD dst_unused:UNUSED_PAD src0_sel:WORD_1 src1_sel:DWORD
	v_fma_f16 v2, v22, v2, v9
	v_lshrrev_b32_e32 v9, 16, v1
	v_mul_f16_sdwa v22, v19, v9 dst_sel:DWORD dst_unused:UNUSED_PAD src0_sel:WORD_1 src1_sel:DWORD
	v_fma_f16 v22, v19, v1, v22
	v_mul_f16_sdwa v1, v19, v1 dst_sel:DWORD dst_unused:UNUSED_PAD src0_sel:WORD_1 src1_sel:DWORD
	v_fma_f16 v9, v19, v9, -v1
	v_lshrrev_b32_e32 v1, 16, v3
	v_mul_f16_sdwa v19, v20, v1 dst_sel:DWORD dst_unused:UNUSED_PAD src0_sel:WORD_1 src1_sel:DWORD
	v_fma_f16 v19, v20, v3, v19
	v_mul_f16_sdwa v3, v20, v3 dst_sel:DWORD dst_unused:UNUSED_PAD src0_sel:WORD_1 src1_sel:DWORD
	v_fma_f16 v3, v20, v1, -v3
	v_add_f16_e32 v1, v15, v2
	v_add_f16_e32 v20, v18, v0
	v_sub_f16_e32 v2, v15, v2
	v_add_f16_e32 v15, v17, v21
	v_sub_f16_e32 v17, v17, v21
	v_sub_f16_e32 v0, v18, v0
	v_add_f16_e32 v18, v14, v47
	v_add_f16_e32 v21, v10, v8
	v_sub_f16_e32 v8, v8, v10
	v_add_f16_e32 v10, v23, v12
	v_sub_f16_e32 v12, v12, v23
	;; [unrolled: 2-line block ×3, first 2 shown]
	v_sub_f16_e32 v47, v20, v1
	v_sub_f16_e32 v1, v1, v21
	v_sub_f16_e32 v20, v21, v20
	v_add_f16_e32 v21, v21, v23
	v_add_f16_e32 v23, v18, v15
	v_sub_f16_e32 v48, v18, v15
	v_sub_f16_e32 v15, v15, v10
	v_sub_f16_e32 v18, v10, v18
	v_add_f16_e32 v10, v10, v23
	v_add_f16_e32 v23, v8, v0
	;; [unrolled: 5-line block ×3, first 2 shown]
	v_sub_f16_e32 v50, v12, v14
	v_sub_f16_e32 v12, v17, v12
	;; [unrolled: 1-line block ×3, first 2 shown]
	v_add_f16_e32 v17, v23, v17
	v_mul_f16_e32 v1, 0x3a52, v1
	v_mul_f16_e32 v23, 0x2b26, v20
	v_fma_f16 v20, v20, s14, v1
	v_fma_f16 v23, v47, s16, -v23
	v_fma_f16 v47, v47, s17, -v1
	v_mul_f16_e32 v1, 0x3a52, v15
	v_mul_f16_e32 v15, 0x2b26, v18
	v_fma_f16 v18, v18, s14, v1
	v_fma_f16 v15, v48, s16, -v15
	v_fma_f16 v48, v48, s17, -v1
	v_mul_f16_e32 v1, 0x3846, v49
	v_mul_f16_e32 v49, 0x3b00, v0
	v_fma_f16 v51, v0, s1, -v1
	v_fma_f16 v52, v8, s15, v1
	ds_read2_b32 v[0:1], v37 offset1:56
	v_fma_f16 v8, v8, s13, v49
	v_mul_f16_e32 v49, 0x3846, v50
	v_mul_f16_e32 v50, 0x3b00, v14
	v_fma_f16 v14, v14, s1, -v49
	v_fma_f16 v49, v12, s15, v49
	v_fma_f16 v12, v12, s13, v50
	s_waitcnt lgkmcnt(0)
	v_add_f16_e32 v50, v0, v21
	v_add_f16_sdwa v0, v0, v10 dst_sel:DWORD dst_unused:UNUSED_PAD src0_sel:WORD_1 src1_sel:DWORD
	v_fma_f16 v21, v21, s12, v50
	v_fma_f16 v10, v10, s12, v0
	v_add_f16_e32 v20, v20, v21
	v_add_f16_e32 v23, v23, v21
	v_add_f16_e32 v21, v47, v21
	v_add_f16_e32 v18, v18, v10
	v_add_f16_e32 v15, v15, v10
	v_add_f16_e32 v10, v48, v10
	v_fma_f16 v47, v2, s0, v52
	v_fma_f16 v48, v2, s0, v51
	;; [unrolled: 1-line block ×6, first 2 shown]
	v_sub_f16_e32 v17, v23, v14
	v_add_f16_e32 v14, v14, v23
	v_add_f16_e32 v23, v48, v15
	v_sub_f16_e32 v15, v15, v48
	v_add_f16_e32 v48, v12, v21
	v_sub_f16_e32 v12, v21, v12
	v_sub_f16_e32 v21, v10, v2
	v_add_f16_e32 v2, v2, v10
	v_add_f16_e32 v10, v8, v20
	v_sub_f16_e32 v8, v20, v8
	v_sub_f16_e32 v20, v18, v47
	v_add_f16_e32 v18, v47, v18
	v_add_f16_e32 v47, v11, v19
	v_sub_f16_e32 v11, v11, v19
	v_add_f16_e32 v19, v4, v3
	v_sub_f16_e32 v3, v4, v3
	;; [unrolled: 2-line block ×7, first 2 shown]
	v_sub_f16_e32 v47, v47, v9
	v_sub_f16_e32 v4, v9, v4
	v_add_f16_e32 v7, v9, v7
	v_add_f16_e32 v9, v24, v19
	v_sub_f16_e32 v51, v24, v19
	v_sub_f16_e32 v19, v19, v46
	;; [unrolled: 1-line block ×3, first 2 shown]
	v_mul_f16_e32 v47, 0x3a52, v47
	v_mul_f16_e32 v54, 0x2b26, v4
	v_add_f16_e32 v9, v46, v9
	v_add_f16_e32 v46, v13, v22
	v_sub_f16_e32 v52, v13, v22
	v_sub_f16_e32 v22, v22, v11
	v_fma_f16 v4, v4, s14, v47
	v_fma_f16 v54, v49, s16, -v54
	v_fma_f16 v47, v49, s17, -v47
	v_mul_f16_e32 v19, 0x3a52, v19
	v_mul_f16_e32 v49, 0x2b26, v24
	v_sub_f16_e32 v13, v11, v13
	v_add_f16_e32 v11, v46, v11
	v_add_f16_e32 v46, v6, v5
	v_sub_f16_e32 v53, v6, v5
	v_sub_f16_e32 v5, v5, v3
	v_fma_f16 v24, v24, s14, v19
	v_fma_f16 v49, v51, s16, -v49
	v_fma_f16 v19, v51, s17, -v19
	v_mul_f16_e32 v51, 0x3846, v52
	v_mul_f16_e32 v52, 0x3b00, v22
	v_sub_f16_e32 v6, v3, v6
	v_add_f16_e32 v3, v46, v3
	v_add_f16_e32 v46, v1, v7
	v_add_f16_sdwa v1, v1, v9 dst_sel:DWORD dst_unused:UNUSED_PAD src0_sel:WORD_1 src1_sel:DWORD
	v_fma_f16 v22, v22, s1, -v51
	v_fma_f16 v51, v13, s15, v51
	v_fma_f16 v13, v13, s13, v52
	v_mul_f16_e32 v52, 0x3846, v53
	v_mul_f16_e32 v53, 0x3b00, v5
	v_pack_b32_f16 v10, v10, v20
	v_fma_f16 v5, v5, s1, -v52
	v_fma_f16 v52, v6, s15, v52
	v_fma_f16 v6, v6, s13, v53
	v_fma_f16 v7, v7, s12, v46
	v_fma_f16 v9, v9, s12, v1
	ds_write_b32 v37, v10 offset:448
	v_pack_b32_f16 v10, v48, v21
	v_add_f16_e32 v4, v4, v7
	v_add_f16_e32 v53, v54, v7
	;; [unrolled: 1-line block ×6, first 2 shown]
	v_fma_f16 v19, v11, s0, v51
	v_fma_f16 v22, v11, s0, v22
	v_fma_f16 v11, v11, s0, v13
	v_fma_f16 v13, v3, s0, v52
	v_fma_f16 v5, v3, s0, v5
	v_fma_f16 v3, v3, s0, v6
	ds_write_b32 v37, v10 offset:896
	v_pack_b32_f16 v10, v17, v23
	v_pack_b32_f16 v2, v12, v2
	v_add_f16_e32 v49, v22, v47
	v_sub_f16_e32 v22, v47, v22
	v_add_f16_e32 v47, v3, v7
	v_sub_f16_e32 v3, v7, v3
	v_sub_f16_e32 v7, v9, v11
	v_add_f16_e32 v9, v11, v9
	v_add_f16_e32 v11, v13, v4
	v_sub_f16_e32 v4, v4, v13
	v_sub_f16_e32 v13, v24, v19
	v_pack_b32_f16 v0, v50, v0
	ds_write_b32 v37, v10 offset:1344
	v_pack_b32_f16 v10, v14, v15
	ds_write_b32 v37, v2 offset:2240
	v_pack_b32_f16 v2, v8, v18
	v_pack_b32_f16 v1, v46, v1
	ds_write_b32 v37, v10 offset:1792
	ds_write_b32 v37, v2 offset:2688
	ds_write2_b32 v37, v0, v1 offset1:56
	v_pack_b32_f16 v0, v11, v13
	v_sub_f16_e32 v6, v53, v5
	ds_write_b32 v37, v0 offset:672
	v_pack_b32_f16 v0, v47, v7
	v_add_f16_e32 v5, v5, v53
	ds_write_b32 v37, v0 offset:1120
	v_pack_b32_f16 v0, v6, v49
	ds_write_b32 v37, v0 offset:1568
	v_pack_b32_f16 v0, v5, v22
	v_add_f16_e32 v19, v19, v24
	ds_write_b32 v37, v0 offset:2016
	v_pack_b32_f16 v0, v3, v9
	ds_write_b32 v37, v0 offset:2464
	v_pack_b32_f16 v0, v4, v19
	ds_write_b32 v37, v0 offset:2912
	s_waitcnt lgkmcnt(0)
	; wave barrier
	s_waitcnt lgkmcnt(0)
	ds_read2_b32 v[2:3], v37 offset1:56
	v_mad_u64_u32 v[4:5], s[0:1], s10, v16, 0
	s_movk_i32 s10, 0x40f
	s_mul_i32 s13, s8, 0xfffffac0
	s_waitcnt lgkmcnt(0)
	v_lshrrev_b32_e32 v7, 16, v2
	v_mul_f16_sdwa v0, v44, v7 dst_sel:DWORD dst_unused:UNUSED_PAD src0_sel:WORD_1 src1_sel:DWORD
	v_fma_f16 v0, v44, v2, v0
	v_cvt_f32_f16_e32 v0, v0
	v_mad_u64_u32 v[5:6], s[0:1], s11, v16, v[5:6]
	v_mul_f16_sdwa v2, v44, v2 dst_sel:DWORD dst_unused:UNUSED_PAD src0_sel:WORD_1 src1_sel:DWORD
	v_cvt_f64_f32_e32 v[0:1], v0
	v_fma_f16 v2, v44, v7, -v2
	v_cvt_f32_f16_e32 v7, v2
	v_mov_b32_e32 v2, 0x7c00
	v_mul_f64 v[0:1], v[0:1], s[2:3]
	s_mov_b32 s11, 0x8000
	v_lshlrev_b64 v[4:5], 2, v[4:5]
	v_and_or_b32 v0, v1, s6, v0
	v_cmp_ne_u32_e32 vcc, 0, v0
	v_cndmask_b32_e64 v0, 0, 1, vcc
	v_lshrrev_b32_e32 v6, 8, v1
	v_bfe_u32 v8, v1, 20, 11
	v_and_or_b32 v0, v6, s7, v0
	v_sub_u32_e32 v9, 0x3f1, v8
	v_or_b32_e32 v6, 0x1000, v0
	v_med3_i32 v9, v9, 0, 13
	v_lshrrev_b32_e32 v10, v9, v6
	v_lshlrev_b32_e32 v9, v9, v10
	v_cmp_ne_u32_e32 vcc, v9, v6
	v_cndmask_b32_e64 v6, 0, 1, vcc
	v_add_u32_e32 v8, 0xfffffc10, v8
	v_or_b32_e32 v6, v10, v6
	v_lshl_or_b32 v9, v8, 12, v0
	v_cmp_gt_i32_e32 vcc, 1, v8
	v_cndmask_b32_e32 v6, v9, v6, vcc
	v_and_b32_e32 v9, 7, v6
	v_cmp_lt_i32_e32 vcc, 5, v9
	v_cmp_eq_u32_e64 s[0:1], 3, v9
	v_lshrrev_b32_e32 v6, 2, v6
	s_or_b64 vcc, s[0:1], vcc
	v_addc_co_u32_e32 v9, vcc, 0, v6, vcc
	v_cvt_f64_f32_e32 v[6:7], v7
	v_cmp_gt_i32_e32 vcc, 31, v8
	v_cndmask_b32_e32 v9, v2, v9, vcc
	v_cmp_ne_u32_e32 vcc, 0, v0
	v_mul_f64 v[6:7], v[6:7], s[2:3]
	v_cndmask_b32_e64 v0, 0, 1, vcc
	v_lshl_or_b32 v0, v0, 9, v2
	v_cmp_eq_u32_e32 vcc, s10, v8
	v_cndmask_b32_e32 v0, v9, v0, vcc
	v_lshrrev_b32_e32 v1, 16, v1
	v_and_or_b32 v10, v1, s11, v0
	v_and_b32_e32 v10, 0xffff, v10
	v_and_or_b32 v0, v7, s6, v6
	v_cmp_ne_u32_e32 vcc, 0, v0
	v_cndmask_b32_e64 v0, 0, 1, vcc
	v_lshrrev_b32_e32 v1, 8, v7
	v_bfe_u32 v6, v7, 20, 11
	v_and_or_b32 v0, v1, s7, v0
	v_sub_u32_e32 v8, 0x3f1, v6
	v_or_b32_e32 v1, 0x1000, v0
	v_med3_i32 v8, v8, 0, 13
	v_lshrrev_b32_e32 v9, v8, v1
	v_lshlrev_b32_e32 v8, v8, v9
	v_cmp_ne_u32_e32 vcc, v8, v1
	v_cndmask_b32_e64 v1, 0, 1, vcc
	v_add_u32_e32 v6, 0xfffffc10, v6
	v_or_b32_e32 v1, v9, v1
	v_lshl_or_b32 v8, v6, 12, v0
	v_cmp_gt_i32_e32 vcc, 1, v6
	v_cndmask_b32_e32 v1, v8, v1, vcc
	v_and_b32_e32 v8, 7, v1
	v_cmp_lt_i32_e32 vcc, 5, v8
	v_cmp_eq_u32_e64 s[0:1], 3, v8
	v_lshrrev_b32_e32 v1, 2, v1
	s_or_b64 vcc, s[0:1], vcc
	v_addc_co_u32_e32 v1, vcc, 0, v1, vcc
	v_cmp_gt_i32_e32 vcc, 31, v6
	v_cndmask_b32_e32 v1, v2, v1, vcc
	v_cmp_ne_u32_e32 vcc, 0, v0
	v_cndmask_b32_e64 v0, 0, 1, vcc
	v_lshl_or_b32 v0, v0, 9, v2
	v_cmp_eq_u32_e32 vcc, s10, v6
	v_mad_u64_u32 v[8:9], s[0:1], s8, v43, 0
	v_cndmask_b32_e32 v11, v1, v0, vcc
	ds_read2_b32 v[0:1], v45 offset0:80 offset1:136
	v_mov_b32_e32 v6, v9
	v_lshrrev_b32_e32 v12, 16, v7
	v_mad_u64_u32 v[6:7], s[0:1], s9, v43, v[6:7]
	s_waitcnt lgkmcnt(0)
	v_lshrrev_b32_e32 v13, 16, v1
	v_mul_f16_sdwa v7, v42, v13 dst_sel:DWORD dst_unused:UNUSED_PAD src0_sel:WORD_1 src1_sel:DWORD
	v_fma_f16 v7, v42, v1, v7
	v_cvt_f32_f16_e32 v7, v7
	v_mov_b32_e32 v9, v6
	v_and_or_b32 v11, v12, s11, v11
	v_lshl_or_b32 v10, v11, 16, v10
	v_cvt_f64_f32_e32 v[6:7], v7
	v_mov_b32_e32 v11, s5
	v_add_co_u32_e32 v14, vcc, s4, v4
	v_mul_f64 v[6:7], v[6:7], s[2:3]
	v_addc_co_u32_e32 v15, vcc, v11, v5, vcc
	v_lshlrev_b64 v[4:5], 2, v[8:9]
	v_mul_f16_sdwa v1, v42, v1 dst_sel:DWORD dst_unused:UNUSED_PAD src0_sel:WORD_1 src1_sel:DWORD
	v_add_co_u32_e32 v4, vcc, v14, v4
	v_addc_co_u32_e32 v5, vcc, v15, v5, vcc
	v_and_or_b32 v6, v7, s6, v6
	v_cmp_ne_u32_e32 vcc, 0, v6
	v_cndmask_b32_e64 v6, 0, 1, vcc
	v_lshrrev_b32_e32 v8, 8, v7
	v_bfe_u32 v9, v7, 20, 11
	global_store_dword v[4:5], v10, off
	v_and_or_b32 v6, v8, s7, v6
	v_sub_u32_e32 v10, 0x3f1, v9
	v_or_b32_e32 v8, 0x1000, v6
	v_med3_i32 v10, v10, 0, 13
	v_lshrrev_b32_e32 v11, v10, v8
	v_lshlrev_b32_e32 v10, v10, v11
	v_cmp_ne_u32_e32 vcc, v10, v8
	v_fma_f16 v1, v42, v13, -v1
	v_cndmask_b32_e64 v8, 0, 1, vcc
	v_add_u32_e32 v10, 0xfffffc10, v9
	v_cvt_f32_f16_e32 v1, v1
	v_or_b32_e32 v8, v11, v8
	v_lshl_or_b32 v9, v10, 12, v6
	v_cmp_gt_i32_e32 vcc, 1, v10
	v_cndmask_b32_e32 v8, v9, v8, vcc
	v_and_b32_e32 v9, 7, v8
	v_cmp_lt_i32_e32 vcc, 5, v9
	v_cmp_eq_u32_e64 s[0:1], 3, v9
	v_lshrrev_b32_e32 v11, 2, v8
	v_cvt_f64_f32_e32 v[8:9], v1
	s_or_b64 vcc, s[0:1], vcc
	v_addc_co_u32_e32 v1, vcc, 0, v11, vcc
	v_mul_f64 v[8:9], v[8:9], s[2:3]
	v_cmp_gt_i32_e32 vcc, 31, v10
	v_cndmask_b32_e32 v1, v2, v1, vcc
	v_cmp_ne_u32_e32 vcc, 0, v6
	v_cndmask_b32_e64 v6, 0, 1, vcc
	v_lshl_or_b32 v6, v6, 9, v2
	v_cmp_eq_u32_e32 vcc, s10, v10
	v_cndmask_b32_e32 v1, v1, v6, vcc
	v_lshrrev_b32_e32 v6, 16, v7
	v_and_or_b32 v1, v6, s11, v1
	v_and_or_b32 v6, v9, s6, v8
	v_cmp_ne_u32_e32 vcc, 0, v6
	v_cndmask_b32_e64 v6, 0, 1, vcc
	v_lshrrev_b32_e32 v7, 8, v9
	v_bfe_u32 v8, v9, 20, 11
	v_and_or_b32 v6, v7, s7, v6
	v_sub_u32_e32 v10, 0x3f1, v8
	v_or_b32_e32 v7, 0x1000, v6
	v_med3_i32 v10, v10, 0, 13
	v_lshrrev_b32_e32 v11, v10, v7
	v_lshlrev_b32_e32 v10, v10, v11
	v_cmp_ne_u32_e32 vcc, v10, v7
	v_cndmask_b32_e64 v7, 0, 1, vcc
	v_add_u32_e32 v8, 0xfffffc10, v8
	v_or_b32_e32 v7, v11, v7
	v_lshl_or_b32 v10, v8, 12, v6
	v_cmp_gt_i32_e32 vcc, 1, v8
	v_cndmask_b32_e32 v7, v10, v7, vcc
	v_and_b32_e32 v10, 7, v7
	v_cmp_lt_i32_e32 vcc, 5, v10
	v_cmp_eq_u32_e64 s[0:1], 3, v10
	v_lshrrev_b32_e32 v7, 2, v7
	s_or_b64 vcc, s[0:1], vcc
	v_addc_co_u32_e32 v7, vcc, 0, v7, vcc
	v_cmp_gt_i32_e32 vcc, 31, v8
	v_cndmask_b32_e32 v7, v2, v7, vcc
	v_cmp_ne_u32_e32 vcc, 0, v6
	v_cndmask_b32_e64 v6, 0, 1, vcc
	v_lshl_or_b32 v6, v6, 9, v2
	v_cmp_eq_u32_e32 vcc, s10, v8
	v_lshrrev_b32_e32 v8, 16, v3
	v_cndmask_b32_e32 v6, v7, v6, vcc
	v_lshrrev_b32_e32 v7, 16, v9
	v_mul_f16_sdwa v9, v41, v8 dst_sel:DWORD dst_unused:UNUSED_PAD src0_sel:WORD_1 src1_sel:DWORD
	v_fma_f16 v9, v41, v3, v9
	v_cvt_f32_f16_e32 v9, v9
	v_and_or_b32 v6, v7, s11, v6
	v_and_b32_e32 v1, 0xffff, v1
	v_lshl_or_b32 v1, v6, 16, v1
	v_cvt_f64_f32_e32 v[6:7], v9
	s_mul_i32 s0, s9, 0x620
	s_mul_hi_u32 s4, s8, 0x620
	s_add_i32 s4, s4, s0
	v_mul_f64 v[6:7], v[6:7], s[2:3]
	s_mul_i32 s5, s8, 0x620
	v_mov_b32_e32 v9, s4
	v_add_co_u32_e32 v4, vcc, s5, v4
	v_addc_co_u32_e32 v5, vcc, v5, v9, vcc
	global_store_dword v[4:5], v1, off
	v_and_or_b32 v1, v7, s6, v6
	v_cmp_ne_u32_e32 vcc, 0, v1
	v_cndmask_b32_e64 v1, 0, 1, vcc
	v_lshrrev_b32_e32 v6, 8, v7
	v_bfe_u32 v9, v7, 20, 11
	v_and_or_b32 v1, v6, s7, v1
	v_sub_u32_e32 v10, 0x3f1, v9
	v_or_b32_e32 v6, 0x1000, v1
	v_med3_i32 v10, v10, 0, 13
	v_lshrrev_b32_e32 v11, v10, v6
	v_lshlrev_b32_e32 v10, v10, v11
	v_mul_f16_sdwa v3, v41, v3 dst_sel:DWORD dst_unused:UNUSED_PAD src0_sel:WORD_1 src1_sel:DWORD
	v_cmp_ne_u32_e32 vcc, v10, v6
	v_fma_f16 v3, v41, v8, -v3
	v_cndmask_b32_e64 v6, 0, 1, vcc
	v_add_u32_e32 v10, 0xfffffc10, v9
	v_cvt_f32_f16_e32 v3, v3
	v_or_b32_e32 v6, v11, v6
	v_lshl_or_b32 v9, v10, 12, v1
	v_cmp_gt_i32_e32 vcc, 1, v10
	v_cndmask_b32_e32 v6, v9, v6, vcc
	v_and_b32_e32 v9, 7, v6
	v_cmp_lt_i32_e32 vcc, 5, v9
	v_cmp_eq_u32_e64 s[0:1], 3, v9
	v_cvt_f64_f32_e32 v[8:9], v3
	v_lshrrev_b32_e32 v6, 2, v6
	s_or_b64 vcc, s[0:1], vcc
	v_addc_co_u32_e32 v3, vcc, 0, v6, vcc
	v_mul_f64 v[8:9], v[8:9], s[2:3]
	v_cmp_gt_i32_e32 vcc, 31, v10
	v_cndmask_b32_e32 v3, v2, v3, vcc
	v_cmp_ne_u32_e32 vcc, 0, v1
	v_cndmask_b32_e64 v1, 0, 1, vcc
	v_lshl_or_b32 v1, v1, 9, v2
	v_cmp_eq_u32_e32 vcc, s10, v10
	v_cndmask_b32_e32 v1, v3, v1, vcc
	v_lshrrev_b32_e32 v3, 16, v7
	v_and_or_b32 v1, v3, s11, v1
	v_and_or_b32 v3, v9, s6, v8
	v_cmp_ne_u32_e32 vcc, 0, v3
	v_cndmask_b32_e64 v3, 0, 1, vcc
	v_lshrrev_b32_e32 v6, 8, v9
	v_bfe_u32 v7, v9, 20, 11
	v_and_or_b32 v3, v6, s7, v3
	v_sub_u32_e32 v8, 0x3f1, v7
	v_or_b32_e32 v6, 0x1000, v3
	v_med3_i32 v8, v8, 0, 13
	v_lshrrev_b32_e32 v10, v8, v6
	v_lshlrev_b32_e32 v8, v8, v10
	v_cmp_ne_u32_e32 vcc, v8, v6
	v_cndmask_b32_e64 v6, 0, 1, vcc
	v_add_u32_e32 v8, 0xfffffc10, v7
	v_or_b32_e32 v6, v10, v6
	v_lshl_or_b32 v7, v8, 12, v3
	v_cmp_gt_i32_e32 vcc, 1, v8
	v_cndmask_b32_e32 v6, v7, v6, vcc
	v_and_b32_e32 v7, 7, v6
	v_cmp_lt_i32_e32 vcc, 5, v7
	v_cmp_eq_u32_e64 s[0:1], 3, v7
	v_lshrrev_b32_e32 v6, 2, v6
	s_or_b64 vcc, s[0:1], vcc
	v_addc_co_u32_e32 v6, vcc, 0, v6, vcc
	v_cmp_gt_i32_e32 vcc, 31, v8
	v_cndmask_b32_e32 v10, v2, v6, vcc
	ds_read2_b32 v[6:7], v45 offset0:192 offset1:248
	v_cmp_ne_u32_e32 vcc, 0, v3
	v_cndmask_b32_e64 v3, 0, 1, vcc
	v_lshl_or_b32 v3, v3, 9, v2
	v_cmp_eq_u32_e32 vcc, s10, v8
	v_cndmask_b32_e32 v3, v10, v3, vcc
	v_lshrrev_b32_e32 v8, 16, v9
	s_waitcnt lgkmcnt(0)
	v_lshrrev_b32_e32 v10, 16, v6
	v_and_or_b32 v3, v8, s11, v3
	v_mul_f16_sdwa v8, v40, v10 dst_sel:DWORD dst_unused:UNUSED_PAD src0_sel:WORD_1 src1_sel:DWORD
	v_fma_f16 v8, v40, v6, v8
	v_cvt_f32_f16_e32 v8, v8
	s_mul_hi_u32 s1, s8, 0xfffffac0
	s_mul_i32 s0, s9, 0xfffffac0
	s_sub_i32 s12, s1, s8
	v_cvt_f64_f32_e32 v[8:9], v8
	v_and_b32_e32 v1, 0xffff, v1
	s_add_i32 s12, s12, s0
	v_lshl_or_b32 v1, v3, 16, v1
	v_mul_f64 v[8:9], v[8:9], s[2:3]
	v_mov_b32_e32 v11, s12
	v_add_co_u32_e32 v3, vcc, s13, v4
	v_addc_co_u32_e32 v4, vcc, v5, v11, vcc
	global_store_dword v[3:4], v1, off
	v_mul_f16_sdwa v6, v40, v6 dst_sel:DWORD dst_unused:UNUSED_PAD src0_sel:WORD_1 src1_sel:DWORD
	v_and_or_b32 v1, v9, s6, v8
	v_cmp_ne_u32_e32 vcc, 0, v1
	v_cndmask_b32_e64 v1, 0, 1, vcc
	v_lshrrev_b32_e32 v5, 8, v9
	v_bfe_u32 v8, v9, 20, 11
	v_and_or_b32 v1, v5, s7, v1
	v_sub_u32_e32 v11, 0x3f1, v8
	v_or_b32_e32 v5, 0x1000, v1
	v_med3_i32 v11, v11, 0, 13
	v_lshrrev_b32_e32 v12, v11, v5
	v_lshlrev_b32_e32 v11, v11, v12
	v_fma_f16 v6, v40, v10, -v6
	v_cmp_ne_u32_e32 vcc, v11, v5
	v_cvt_f32_f16_e32 v6, v6
	v_cndmask_b32_e64 v5, 0, 1, vcc
	v_add_u32_e32 v8, 0xfffffc10, v8
	v_or_b32_e32 v5, v12, v5
	v_lshl_or_b32 v11, v8, 12, v1
	v_cmp_gt_i32_e32 vcc, 1, v8
	v_cndmask_b32_e32 v5, v11, v5, vcc
	v_and_b32_e32 v11, 7, v5
	v_lshrrev_b32_e32 v10, 2, v5
	v_cvt_f64_f32_e32 v[5:6], v6
	v_cmp_lt_i32_e32 vcc, 5, v11
	v_cmp_eq_u32_e64 s[0:1], 3, v11
	s_or_b64 vcc, s[0:1], vcc
	v_mul_f64 v[5:6], v[5:6], s[2:3]
	v_addc_co_u32_e32 v10, vcc, 0, v10, vcc
	v_cmp_gt_i32_e32 vcc, 31, v8
	v_cndmask_b32_e32 v10, v2, v10, vcc
	v_cmp_ne_u32_e32 vcc, 0, v1
	v_cndmask_b32_e64 v1, 0, 1, vcc
	v_lshl_or_b32 v1, v1, 9, v2
	v_cmp_eq_u32_e32 vcc, s10, v8
	v_cndmask_b32_e32 v1, v10, v1, vcc
	v_lshrrev_b32_e32 v8, 16, v9
	v_and_or_b32 v16, v8, s11, v1
	v_and_or_b32 v1, v6, s6, v5
	v_cmp_ne_u32_e32 vcc, 0, v1
	v_cndmask_b32_e64 v1, 0, 1, vcc
	v_lshrrev_b32_e32 v5, 8, v6
	v_bfe_u32 v8, v6, 20, 11
	v_and_or_b32 v1, v5, s7, v1
	v_sub_u32_e32 v9, 0x3f1, v8
	v_or_b32_e32 v5, 0x1000, v1
	v_med3_i32 v9, v9, 0, 13
	v_lshrrev_b32_e32 v10, v9, v5
	v_lshlrev_b32_e32 v9, v9, v10
	v_cmp_ne_u32_e32 vcc, v9, v5
	v_cndmask_b32_e64 v5, 0, 1, vcc
	v_add_u32_e32 v12, 0xfffffc10, v8
	v_or_b32_e32 v5, v10, v5
	v_lshl_or_b32 v8, v12, 12, v1
	v_cmp_gt_i32_e32 vcc, 1, v12
	v_cndmask_b32_e32 v5, v8, v5, vcc
	v_and_b32_e32 v8, 7, v5
	v_cmp_lt_i32_e32 vcc, 5, v8
	v_cmp_eq_u32_e64 s[0:1], 3, v8
	v_lshrrev_b32_e32 v5, 2, v5
	s_or_b64 vcc, s[0:1], vcc
	ds_read2_b32 v[10:11], v37 offset0:112 offset1:168
	v_addc_co_u32_e32 v5, vcc, 0, v5, vcc
	v_cmp_gt_i32_e32 vcc, 31, v12
	v_cndmask_b32_e32 v5, v2, v5, vcc
	v_cmp_ne_u32_e32 vcc, 0, v1
	v_cndmask_b32_e64 v1, 0, 1, vcc
	v_lshl_or_b32 v1, v1, 9, v2
	v_cmp_eq_u32_e32 vcc, s10, v12
	s_waitcnt lgkmcnt(0)
	v_lshrrev_b32_e32 v18, 16, v10
	v_cndmask_b32_e32 v17, v5, v1, vcc
	v_mul_f16_sdwa v5, v38, v18 dst_sel:DWORD dst_unused:UNUSED_PAD src0_sel:WORD_1 src1_sel:DWORD
	v_mad_u64_u32 v[8:9], s[0:1], s8, v39, 0
	v_fma_f16 v5, v38, v10, v5
	v_cvt_f32_f16_e32 v5, v5
	v_mov_b32_e32 v1, v9
	v_mad_u64_u32 v[12:13], s[0:1], s9, v39, v[1:2]
	v_lshrrev_b32_e32 v1, 16, v6
	v_cvt_f64_f32_e32 v[5:6], v5
	v_mov_b32_e32 v9, v12
	v_lshlrev_b64 v[8:9], 2, v[8:9]
	v_and_or_b32 v1, v1, s11, v17
	v_mul_f64 v[5:6], v[5:6], s[2:3]
	v_and_b32_e32 v12, 0xffff, v16
	v_add_co_u32_e32 v8, vcc, v14, v8
	v_lshl_or_b32 v1, v1, 16, v12
	v_addc_co_u32_e32 v9, vcc, v15, v9, vcc
	global_store_dword v[8:9], v1, off
	v_and_or_b32 v1, v6, s6, v5
	v_cmp_ne_u32_e32 vcc, 0, v1
	v_cndmask_b32_e64 v1, 0, 1, vcc
	v_lshrrev_b32_e32 v5, 8, v6
	v_bfe_u32 v8, v6, 20, 11
	v_and_or_b32 v1, v5, s7, v1
	v_sub_u32_e32 v9, 0x3f1, v8
	v_or_b32_e32 v5, 0x1000, v1
	v_med3_i32 v9, v9, 0, 13
	v_lshrrev_b32_e32 v12, v9, v5
	v_lshlrev_b32_e32 v9, v9, v12
	v_cmp_ne_u32_e32 vcc, v9, v5
	v_mul_f16_sdwa v9, v38, v10 dst_sel:DWORD dst_unused:UNUSED_PAD src0_sel:WORD_1 src1_sel:DWORD
	v_cndmask_b32_e64 v5, 0, 1, vcc
	v_fma_f16 v9, v38, v18, -v9
	v_or_b32_e32 v5, v12, v5
	v_add_u32_e32 v12, 0xfffffc10, v8
	v_cvt_f32_f16_e32 v9, v9
	v_lshl_or_b32 v8, v12, 12, v1
	v_cmp_gt_i32_e32 vcc, 1, v12
	v_cndmask_b32_e32 v5, v8, v5, vcc
	v_and_b32_e32 v8, 7, v5
	v_cmp_lt_i32_e32 vcc, 5, v8
	v_cmp_eq_u32_e64 s[0:1], 3, v8
	v_cvt_f64_f32_e32 v[8:9], v9
	v_lshrrev_b32_e32 v5, 2, v5
	s_or_b64 vcc, s[0:1], vcc
	v_addc_co_u32_e32 v5, vcc, 0, v5, vcc
	v_mul_f64 v[8:9], v[8:9], s[2:3]
	v_cmp_gt_i32_e32 vcc, 31, v12
	v_cndmask_b32_e32 v5, v2, v5, vcc
	v_cmp_ne_u32_e32 vcc, 0, v1
	v_cndmask_b32_e64 v1, 0, 1, vcc
	v_lshl_or_b32 v1, v1, 9, v2
	v_cmp_eq_u32_e32 vcc, s10, v12
	v_cndmask_b32_e32 v1, v5, v1, vcc
	v_lshrrev_b32_e32 v5, 16, v6
	v_and_or_b32 v1, v5, s11, v1
	v_and_or_b32 v5, v9, s6, v8
	v_cmp_ne_u32_e32 vcc, 0, v5
	v_cndmask_b32_e64 v5, 0, 1, vcc
	v_lshrrev_b32_e32 v6, 8, v9
	v_bfe_u32 v8, v9, 20, 11
	v_and_or_b32 v5, v6, s7, v5
	v_sub_u32_e32 v10, 0x3f1, v8
	v_or_b32_e32 v6, 0x1000, v5
	v_med3_i32 v10, v10, 0, 13
	v_lshrrev_b32_e32 v12, v10, v6
	v_lshlrev_b32_e32 v10, v10, v12
	v_cmp_ne_u32_e32 vcc, v10, v6
	v_cndmask_b32_e64 v6, 0, 1, vcc
	v_add_u32_e32 v8, 0xfffffc10, v8
	v_or_b32_e32 v6, v12, v6
	v_lshl_or_b32 v10, v8, 12, v5
	v_cmp_gt_i32_e32 vcc, 1, v8
	v_cndmask_b32_e32 v6, v10, v6, vcc
	v_and_b32_e32 v10, 7, v6
	v_cmp_lt_i32_e32 vcc, 5, v10
	v_cmp_eq_u32_e64 s[0:1], 3, v10
	v_lshrrev_b32_e32 v6, 2, v6
	s_or_b64 vcc, s[0:1], vcc
	v_addc_co_u32_e32 v6, vcc, 0, v6, vcc
	v_cmp_gt_i32_e32 vcc, 31, v8
	v_lshrrev_b32_e32 v12, 16, v7
	v_cndmask_b32_e32 v10, v2, v6, vcc
	v_mul_f16_sdwa v6, v35, v12 dst_sel:DWORD dst_unused:UNUSED_PAD src0_sel:WORD_1 src1_sel:DWORD
	v_fma_f16 v6, v35, v7, v6
	v_cvt_f32_f16_e32 v6, v6
	v_cmp_ne_u32_e32 vcc, 0, v5
	v_cndmask_b32_e64 v5, 0, 1, vcc
	v_lshl_or_b32 v13, v5, 9, v2
	v_cvt_f64_f32_e32 v[5:6], v6
	v_mad_u64_u32 v[3:4], s[0:1], s8, v36, v[3:4]
	v_cmp_eq_u32_e32 vcc, s10, v8
	v_mul_f64 v[5:6], v[5:6], s[2:3]
	v_cndmask_b32_e32 v8, v10, v13, vcc
	v_lshrrev_b32_e32 v9, 16, v9
	v_and_or_b32 v8, v9, s11, v8
	v_and_b32_e32 v1, 0xffff, v1
	s_mul_i32 s0, s9, 0xe0
	v_lshl_or_b32 v1, v8, 16, v1
	v_add_u32_e32 v4, s0, v4
	global_store_dword v[3:4], v1, off
	v_and_or_b32 v1, v6, s6, v5
	v_cmp_ne_u32_e32 vcc, 0, v1
	v_cndmask_b32_e64 v1, 0, 1, vcc
	v_lshrrev_b32_e32 v5, 8, v6
	v_bfe_u32 v8, v6, 20, 11
	v_and_or_b32 v1, v5, s7, v1
	v_sub_u32_e32 v9, 0x3f1, v8
	v_or_b32_e32 v5, 0x1000, v1
	v_med3_i32 v9, v9, 0, 13
	v_lshrrev_b32_e32 v10, v9, v5
	v_lshlrev_b32_e32 v9, v9, v10
	v_mul_f16_sdwa v7, v35, v7 dst_sel:DWORD dst_unused:UNUSED_PAD src0_sel:WORD_1 src1_sel:DWORD
	v_cmp_ne_u32_e32 vcc, v9, v5
	v_fma_f16 v7, v35, v12, -v7
	v_cndmask_b32_e64 v5, 0, 1, vcc
	v_add_u32_e32 v9, 0xfffffc10, v8
	v_cvt_f32_f16_e32 v7, v7
	v_or_b32_e32 v5, v10, v5
	v_lshl_or_b32 v8, v9, 12, v1
	v_cmp_gt_i32_e32 vcc, 1, v9
	v_cndmask_b32_e32 v5, v8, v5, vcc
	v_and_b32_e32 v8, 7, v5
	v_cmp_lt_i32_e32 vcc, 5, v8
	v_cmp_eq_u32_e64 s[0:1], 3, v8
	v_cvt_f64_f32_e32 v[7:8], v7
	v_lshrrev_b32_e32 v5, 2, v5
	s_or_b64 vcc, s[0:1], vcc
	v_addc_co_u32_e32 v5, vcc, 0, v5, vcc
	v_mul_f64 v[7:8], v[7:8], s[2:3]
	v_cmp_gt_i32_e32 vcc, 31, v9
	v_cndmask_b32_e32 v5, v2, v5, vcc
	v_cmp_ne_u32_e32 vcc, 0, v1
	v_cndmask_b32_e64 v1, 0, 1, vcc
	v_lshl_or_b32 v1, v1, 9, v2
	v_cmp_eq_u32_e32 vcc, s10, v9
	v_cndmask_b32_e32 v1, v5, v1, vcc
	v_lshrrev_b32_e32 v5, 16, v6
	v_and_or_b32 v1, v5, s11, v1
	v_and_or_b32 v5, v8, s6, v7
	v_cmp_ne_u32_e32 vcc, 0, v5
	v_cndmask_b32_e64 v5, 0, 1, vcc
	v_lshrrev_b32_e32 v6, 8, v8
	v_bfe_u32 v7, v8, 20, 11
	v_and_or_b32 v5, v6, s7, v5
	v_sub_u32_e32 v9, 0x3f1, v7
	v_or_b32_e32 v6, 0x1000, v5
	v_med3_i32 v9, v9, 0, 13
	v_lshrrev_b32_e32 v10, v9, v6
	v_lshlrev_b32_e32 v9, v9, v10
	v_cmp_ne_u32_e32 vcc, v9, v6
	v_cndmask_b32_e64 v6, 0, 1, vcc
	v_add_u32_e32 v7, 0xfffffc10, v7
	v_or_b32_e32 v6, v10, v6
	v_lshl_or_b32 v9, v7, 12, v5
	v_cmp_gt_i32_e32 vcc, 1, v7
	v_cndmask_b32_e32 v6, v9, v6, vcc
	v_and_b32_e32 v9, 7, v6
	v_cmp_lt_i32_e32 vcc, 5, v9
	v_cmp_eq_u32_e64 s[0:1], 3, v9
	v_lshrrev_b32_e32 v9, 16, v11
	v_lshrrev_b32_e32 v6, 2, v6
	s_or_b64 vcc, s[0:1], vcc
	v_mul_f16_sdwa v10, v32, v9 dst_sel:DWORD dst_unused:UNUSED_PAD src0_sel:WORD_1 src1_sel:DWORD
	v_addc_co_u32_e32 v6, vcc, 0, v6, vcc
	v_fma_f16 v10, v32, v11, v10
	v_cmp_gt_i32_e32 vcc, 31, v7
	v_cvt_f32_f16_e32 v10, v10
	v_cndmask_b32_e32 v6, v2, v6, vcc
	v_cmp_ne_u32_e32 vcc, 0, v5
	v_cndmask_b32_e64 v5, 0, 1, vcc
	v_lshl_or_b32 v5, v5, 9, v2
	v_cmp_eq_u32_e32 vcc, s10, v7
	v_cndmask_b32_e32 v7, v6, v5, vcc
	v_cvt_f64_f32_e32 v[5:6], v10
	v_lshrrev_b32_e32 v8, 16, v8
	v_and_or_b32 v7, v8, s11, v7
	v_and_b32_e32 v1, 0xffff, v1
	v_mul_f64 v[5:6], v[5:6], s[2:3]
	v_lshl_or_b32 v1, v7, 16, v1
	v_mov_b32_e32 v7, s4
	v_add_co_u32_e32 v3, vcc, s5, v3
	v_addc_co_u32_e32 v4, vcc, v4, v7, vcc
	global_store_dword v[3:4], v1, off
	v_and_or_b32 v1, v6, s6, v5
	v_cmp_ne_u32_e32 vcc, 0, v1
	v_cndmask_b32_e64 v1, 0, 1, vcc
	v_lshrrev_b32_e32 v5, 8, v6
	v_bfe_u32 v7, v6, 20, 11
	v_and_or_b32 v1, v5, s7, v1
	v_sub_u32_e32 v8, 0x3f1, v7
	v_or_b32_e32 v5, 0x1000, v1
	v_med3_i32 v8, v8, 0, 13
	v_lshrrev_b32_e32 v10, v8, v5
	v_lshlrev_b32_e32 v8, v8, v10
	v_cmp_ne_u32_e32 vcc, v8, v5
	v_mul_f16_sdwa v8, v32, v11 dst_sel:DWORD dst_unused:UNUSED_PAD src0_sel:WORD_1 src1_sel:DWORD
	v_cndmask_b32_e64 v5, 0, 1, vcc
	v_fma_f16 v8, v32, v9, -v8
	v_or_b32_e32 v5, v10, v5
	v_add_u32_e32 v10, 0xfffffc10, v7
	v_cvt_f32_f16_e32 v8, v8
	v_lshl_or_b32 v7, v10, 12, v1
	v_cmp_gt_i32_e32 vcc, 1, v10
	v_cndmask_b32_e32 v5, v7, v5, vcc
	v_and_b32_e32 v7, 7, v5
	v_cmp_lt_i32_e32 vcc, 5, v7
	v_cmp_eq_u32_e64 s[0:1], 3, v7
	v_cvt_f64_f32_e32 v[7:8], v8
	v_lshrrev_b32_e32 v5, 2, v5
	s_or_b64 vcc, s[0:1], vcc
	v_addc_co_u32_e32 v5, vcc, 0, v5, vcc
	v_mul_f64 v[7:8], v[7:8], s[2:3]
	v_cmp_gt_i32_e32 vcc, 31, v10
	v_cndmask_b32_e32 v5, v2, v5, vcc
	v_cmp_ne_u32_e32 vcc, 0, v1
	v_cndmask_b32_e64 v1, 0, 1, vcc
	v_lshl_or_b32 v1, v1, 9, v2
	v_cmp_eq_u32_e32 vcc, s10, v10
	v_cndmask_b32_e32 v1, v5, v1, vcc
	v_lshrrev_b32_e32 v5, 16, v6
	v_and_or_b32 v1, v5, s11, v1
	v_and_or_b32 v5, v8, s6, v7
	v_cmp_ne_u32_e32 vcc, 0, v5
	v_cndmask_b32_e64 v5, 0, 1, vcc
	v_lshrrev_b32_e32 v6, 8, v8
	v_and_or_b32 v7, v6, s7, v5
	v_bfe_u32 v6, v8, 20, 11
	v_sub_u32_e32 v9, 0x3f1, v6
	v_or_b32_e32 v5, 0x1000, v7
	v_med3_i32 v9, v9, 0, 13
	v_lshrrev_b32_e32 v10, v9, v5
	v_lshlrev_b32_e32 v9, v9, v10
	v_cmp_ne_u32_e32 vcc, v9, v5
	v_cndmask_b32_e64 v5, 0, 1, vcc
	v_add_u32_e32 v9, 0xfffffc10, v6
	v_or_b32_e32 v5, v10, v5
	v_lshl_or_b32 v6, v9, 12, v7
	v_cmp_gt_i32_e32 vcc, 1, v9
	v_cndmask_b32_e32 v5, v6, v5, vcc
	v_and_b32_e32 v6, 7, v5
	v_cmp_lt_i32_e32 vcc, 5, v6
	v_cmp_eq_u32_e64 s[0:1], 3, v6
	v_lshrrev_b32_e32 v5, 2, v5
	s_or_b64 vcc, s[0:1], vcc
	v_addc_co_u32_e32 v10, vcc, 0, v5, vcc
	ds_read2_b32 v[5:6], v29 offset0:48 offset1:104
	v_cmp_gt_i32_e32 vcc, 31, v9
	v_cndmask_b32_e32 v10, v2, v10, vcc
	v_cmp_ne_u32_e32 vcc, 0, v7
	v_cndmask_b32_e64 v7, 0, 1, vcc
	s_waitcnt lgkmcnt(0)
	v_lshrrev_b32_e32 v11, 16, v5
	v_mul_f16_sdwa v12, v33, v11 dst_sel:DWORD dst_unused:UNUSED_PAD src0_sel:WORD_1 src1_sel:DWORD
	v_fma_f16 v12, v33, v5, v12
	v_cvt_f32_f16_e32 v12, v12
	v_lshl_or_b32 v7, v7, 9, v2
	v_cmp_eq_u32_e32 vcc, s10, v9
	v_cndmask_b32_e32 v7, v10, v7, vcc
	v_cvt_f64_f32_e32 v[9:10], v12
	v_lshrrev_b32_e32 v8, 16, v8
	v_and_or_b32 v12, v8, s11, v7
	v_and_b32_e32 v1, 0xffff, v1
	v_mul_f64 v[7:8], v[9:10], s[2:3]
	v_mov_b32_e32 v9, s12
	v_add_co_u32_e32 v3, vcc, s13, v3
	v_lshl_or_b32 v1, v12, 16, v1
	v_addc_co_u32_e32 v4, vcc, v4, v9, vcc
	global_store_dword v[3:4], v1, off
	v_and_or_b32 v1, v8, s6, v7
	v_cmp_ne_u32_e32 vcc, 0, v1
	v_cndmask_b32_e64 v1, 0, 1, vcc
	v_lshrrev_b32_e32 v7, 8, v8
	v_bfe_u32 v9, v8, 20, 11
	v_and_or_b32 v1, v7, s7, v1
	v_sub_u32_e32 v10, 0x3f1, v9
	v_or_b32_e32 v7, 0x1000, v1
	v_med3_i32 v10, v10, 0, 13
	v_lshrrev_b32_e32 v12, v10, v7
	v_lshlrev_b32_e32 v10, v10, v12
	v_cmp_ne_u32_e32 vcc, v10, v7
	v_mul_f16_sdwa v5, v33, v5 dst_sel:DWORD dst_unused:UNUSED_PAD src0_sel:WORD_1 src1_sel:DWORD
	v_cndmask_b32_e64 v7, 0, 1, vcc
	v_fma_f16 v5, v33, v11, -v5
	v_or_b32_e32 v7, v12, v7
	v_add_u32_e32 v12, 0xfffffc10, v9
	v_cvt_f32_f16_e32 v5, v5
	v_lshl_or_b32 v9, v12, 12, v1
	v_cmp_gt_i32_e32 vcc, 1, v12
	v_cndmask_b32_e32 v7, v9, v7, vcc
	v_and_b32_e32 v9, 7, v7
	v_cmp_lt_i32_e32 vcc, 5, v9
	v_cmp_eq_u32_e64 s[0:1], 3, v9
	v_cvt_f64_f32_e32 v[9:10], v5
	v_lshrrev_b32_e32 v7, 2, v7
	s_or_b64 vcc, s[0:1], vcc
	v_addc_co_u32_e32 v5, vcc, 0, v7, vcc
	v_mul_f64 v[9:10], v[9:10], s[2:3]
	v_cmp_gt_i32_e32 vcc, 31, v12
	v_cndmask_b32_e32 v5, v2, v5, vcc
	v_cmp_ne_u32_e32 vcc, 0, v1
	v_cndmask_b32_e64 v1, 0, 1, vcc
	v_lshl_or_b32 v1, v1, 9, v2
	v_cmp_eq_u32_e32 vcc, s10, v12
	v_cndmask_b32_e32 v1, v5, v1, vcc
	v_lshrrev_b32_e32 v5, 16, v8
	v_and_or_b32 v1, v5, s11, v1
	v_and_or_b32 v5, v10, s6, v9
	v_cmp_ne_u32_e32 vcc, 0, v5
	v_cndmask_b32_e64 v5, 0, 1, vcc
	v_lshrrev_b32_e32 v7, 8, v10
	v_bfe_u32 v8, v10, 20, 11
	v_and_or_b32 v5, v7, s7, v5
	v_sub_u32_e32 v9, 0x3f1, v8
	v_or_b32_e32 v7, 0x1000, v5
	v_med3_i32 v9, v9, 0, 13
	v_lshrrev_b32_e32 v11, v9, v7
	v_lshlrev_b32_e32 v9, v9, v11
	v_cmp_ne_u32_e32 vcc, v9, v7
	v_cndmask_b32_e64 v7, 0, 1, vcc
	v_add_u32_e32 v9, 0xfffffc10, v8
	v_or_b32_e32 v7, v11, v7
	v_lshl_or_b32 v8, v9, 12, v5
	v_cmp_gt_i32_e32 vcc, 1, v9
	v_cndmask_b32_e32 v7, v8, v7, vcc
	v_and_b32_e32 v8, 7, v7
	v_cmp_lt_i32_e32 vcc, 5, v8
	v_cmp_eq_u32_e64 s[0:1], 3, v8
	v_lshrrev_b32_e32 v7, 2, v7
	s_or_b64 vcc, s[0:1], vcc
	v_addc_co_u32_e32 v11, vcc, 0, v7, vcc
	ds_read2_b32 v[7:8], v34 offset0:96 offset1:152
	v_cmp_gt_i32_e32 vcc, 31, v9
	v_cndmask_b32_e32 v11, v2, v11, vcc
	v_cmp_ne_u32_e32 vcc, 0, v5
	v_cndmask_b32_e64 v5, 0, 1, vcc
	s_waitcnt lgkmcnt(0)
	v_lshrrev_b32_e32 v13, 16, v7
	v_mul_f16_sdwa v12, v30, v13 dst_sel:DWORD dst_unused:UNUSED_PAD src0_sel:WORD_1 src1_sel:DWORD
	v_fma_f16 v12, v30, v7, v12
	v_cvt_f32_f16_e32 v12, v12
	v_lshl_or_b32 v5, v5, 9, v2
	v_cmp_eq_u32_e32 vcc, s10, v9
	v_cndmask_b32_e32 v5, v11, v5, vcc
	v_cvt_f64_f32_e32 v[11:12], v12
	v_lshrrev_b32_e32 v9, 16, v10
	v_and_or_b32 v5, v9, s11, v5
	v_and_b32_e32 v1, 0xffff, v1
	v_mul_f64 v[9:10], v[11:12], s[2:3]
	v_lshl_or_b32 v1, v5, 16, v1
	v_mov_b32_e32 v5, s4
	v_add_co_u32_e32 v3, vcc, s5, v3
	v_addc_co_u32_e32 v4, vcc, v4, v5, vcc
	global_store_dword v[3:4], v1, off
	v_and_or_b32 v1, v10, s6, v9
	v_cmp_ne_u32_e32 vcc, 0, v1
	v_cndmask_b32_e64 v1, 0, 1, vcc
	v_lshrrev_b32_e32 v5, 8, v10
	v_bfe_u32 v9, v10, 20, 11
	v_and_or_b32 v1, v5, s7, v1
	v_sub_u32_e32 v11, 0x3f1, v9
	v_or_b32_e32 v5, 0x1000, v1
	v_med3_i32 v11, v11, 0, 13
	v_lshrrev_b32_e32 v12, v11, v5
	v_lshlrev_b32_e32 v11, v11, v12
	v_mul_f16_sdwa v7, v30, v7 dst_sel:DWORD dst_unused:UNUSED_PAD src0_sel:WORD_1 src1_sel:DWORD
	v_cmp_ne_u32_e32 vcc, v11, v5
	v_fma_f16 v7, v30, v13, -v7
	v_cndmask_b32_e64 v5, 0, 1, vcc
	v_add_u32_e32 v9, 0xfffffc10, v9
	v_cvt_f32_f16_e32 v7, v7
	v_or_b32_e32 v5, v12, v5
	v_lshl_or_b32 v11, v9, 12, v1
	v_cmp_gt_i32_e32 vcc, 1, v9
	v_cndmask_b32_e32 v5, v11, v5, vcc
	v_and_b32_e32 v11, 7, v5
	v_cmp_lt_i32_e32 vcc, 5, v11
	v_cmp_eq_u32_e64 s[0:1], 3, v11
	v_cvt_f64_f32_e32 v[11:12], v7
	v_lshrrev_b32_e32 v5, 2, v5
	s_or_b64 vcc, s[0:1], vcc
	v_addc_co_u32_e32 v5, vcc, 0, v5, vcc
	v_mul_f64 v[11:12], v[11:12], s[2:3]
	v_cmp_gt_i32_e32 vcc, 31, v9
	v_cndmask_b32_e32 v5, v2, v5, vcc
	v_cmp_ne_u32_e32 vcc, 0, v1
	v_cndmask_b32_e64 v1, 0, 1, vcc
	v_lshl_or_b32 v1, v1, 9, v2
	v_cmp_eq_u32_e32 vcc, s10, v9
	v_cndmask_b32_e32 v1, v5, v1, vcc
	v_lshrrev_b32_e32 v5, 16, v10
	v_and_or_b32 v1, v5, s11, v1
	v_and_or_b32 v5, v12, s6, v11
	v_cmp_ne_u32_e32 vcc, 0, v5
	v_cndmask_b32_e64 v5, 0, 1, vcc
	v_lshrrev_b32_e32 v7, 8, v12
	v_bfe_u32 v9, v12, 20, 11
	v_and_or_b32 v5, v7, s7, v5
	v_sub_u32_e32 v10, 0x3f1, v9
	v_or_b32_e32 v7, 0x1000, v5
	v_med3_i32 v10, v10, 0, 13
	v_lshrrev_b32_e32 v11, v10, v7
	v_lshlrev_b32_e32 v10, v10, v11
	v_cmp_ne_u32_e32 vcc, v10, v7
	v_cndmask_b32_e64 v7, 0, 1, vcc
	v_add_u32_e32 v9, 0xfffffc10, v9
	v_or_b32_e32 v7, v11, v7
	v_lshl_or_b32 v10, v9, 12, v5
	v_cmp_gt_i32_e32 vcc, 1, v9
	v_cndmask_b32_e32 v7, v10, v7, vcc
	v_and_b32_e32 v10, 7, v7
	v_lshrrev_b32_e32 v11, 16, v6
	v_cmp_lt_i32_e32 vcc, 5, v10
	v_cmp_eq_u32_e64 s[0:1], 3, v10
	v_mul_f16_sdwa v10, v31, v11 dst_sel:DWORD dst_unused:UNUSED_PAD src0_sel:WORD_1 src1_sel:DWORD
	v_fma_f16 v10, v31, v6, v10
	v_lshrrev_b32_e32 v7, 2, v7
	s_or_b64 vcc, s[0:1], vcc
	v_cvt_f32_f16_e32 v10, v10
	v_addc_co_u32_e32 v7, vcc, 0, v7, vcc
	v_cmp_gt_i32_e32 vcc, 31, v9
	v_cndmask_b32_e32 v7, v2, v7, vcc
	v_cmp_ne_u32_e32 vcc, 0, v5
	v_cndmask_b32_e64 v5, 0, 1, vcc
	v_cmp_eq_u32_e32 vcc, s10, v9
	v_cvt_f64_f32_e32 v[9:10], v10
	v_lshl_or_b32 v5, v5, 9, v2
	v_cndmask_b32_e32 v5, v7, v5, vcc
	v_lshrrev_b32_e32 v7, 16, v12
	v_mul_f64 v[9:10], v[9:10], s[2:3]
	v_and_or_b32 v5, v7, s11, v5
	v_and_b32_e32 v1, 0xffff, v1
	v_lshl_or_b32 v1, v5, 16, v1
	v_mov_b32_e32 v5, s12
	v_add_co_u32_e32 v3, vcc, s13, v3
	v_addc_co_u32_e32 v4, vcc, v4, v5, vcc
	global_store_dword v[3:4], v1, off
	v_and_or_b32 v1, v10, s6, v9
	v_cmp_ne_u32_e32 vcc, 0, v1
	v_cndmask_b32_e64 v1, 0, 1, vcc
	v_lshrrev_b32_e32 v5, 8, v10
	v_bfe_u32 v7, v10, 20, 11
	v_and_or_b32 v1, v5, s7, v1
	v_sub_u32_e32 v9, 0x3f1, v7
	v_or_b32_e32 v5, 0x1000, v1
	v_med3_i32 v9, v9, 0, 13
	v_lshrrev_b32_e32 v12, v9, v5
	v_lshlrev_b32_e32 v9, v9, v12
	v_mul_f16_sdwa v6, v31, v6 dst_sel:DWORD dst_unused:UNUSED_PAD src0_sel:WORD_1 src1_sel:DWORD
	v_cmp_ne_u32_e32 vcc, v9, v5
	v_fma_f16 v6, v31, v11, -v6
	v_cndmask_b32_e64 v5, 0, 1, vcc
	v_add_u32_e32 v7, 0xfffffc10, v7
	v_cvt_f32_f16_e32 v6, v6
	v_or_b32_e32 v5, v12, v5
	v_lshl_or_b32 v9, v7, 12, v1
	v_cmp_gt_i32_e32 vcc, 1, v7
	v_cndmask_b32_e32 v5, v9, v5, vcc
	v_and_b32_e32 v9, 7, v5
	v_cmp_lt_i32_e32 vcc, 5, v9
	v_cmp_eq_u32_e64 s[0:1], 3, v9
	v_lshrrev_b32_e32 v9, 2, v5
	v_cvt_f64_f32_e32 v[5:6], v6
	s_or_b64 vcc, s[0:1], vcc
	v_addc_co_u32_e32 v9, vcc, 0, v9, vcc
	v_mul_f64 v[5:6], v[5:6], s[2:3]
	v_cmp_gt_i32_e32 vcc, 31, v7
	v_cndmask_b32_e32 v9, v2, v9, vcc
	v_cmp_ne_u32_e32 vcc, 0, v1
	v_cndmask_b32_e64 v1, 0, 1, vcc
	v_lshl_or_b32 v1, v1, 9, v2
	v_cmp_eq_u32_e32 vcc, s10, v7
	v_cndmask_b32_e32 v1, v9, v1, vcc
	v_and_or_b32 v5, v6, s6, v5
	v_lshrrev_b32_e32 v7, 16, v10
	v_cmp_ne_u32_e32 vcc, 0, v5
	v_and_or_b32 v1, v7, s11, v1
	v_cndmask_b32_e64 v5, 0, 1, vcc
	v_lshrrev_b32_e32 v7, 8, v6
	v_bfe_u32 v9, v6, 20, 11
	v_and_or_b32 v5, v7, s7, v5
	v_sub_u32_e32 v10, 0x3f1, v9
	v_or_b32_e32 v7, 0x1000, v5
	v_med3_i32 v10, v10, 0, 13
	v_lshrrev_b32_e32 v11, v10, v7
	v_lshlrev_b32_e32 v10, v10, v11
	v_cmp_ne_u32_e32 vcc, v10, v7
	v_cndmask_b32_e64 v7, 0, 1, vcc
	v_add_u32_e32 v9, 0xfffffc10, v9
	v_or_b32_e32 v7, v11, v7
	v_lshl_or_b32 v10, v9, 12, v5
	v_cmp_gt_i32_e32 vcc, 1, v9
	v_cndmask_b32_e32 v7, v10, v7, vcc
	v_and_b32_e32 v10, 7, v7
	v_lshrrev_b32_e32 v11, 16, v8
	v_cmp_lt_i32_e32 vcc, 5, v10
	v_cmp_eq_u32_e64 s[0:1], 3, v10
	v_mul_f16_sdwa v10, v28, v11 dst_sel:DWORD dst_unused:UNUSED_PAD src0_sel:WORD_1 src1_sel:DWORD
	v_fma_f16 v10, v28, v8, v10
	v_lshrrev_b32_e32 v7, 2, v7
	s_or_b64 vcc, s[0:1], vcc
	v_cvt_f32_f16_e32 v10, v10
	v_addc_co_u32_e32 v7, vcc, 0, v7, vcc
	v_cmp_gt_i32_e32 vcc, 31, v9
	v_cndmask_b32_e32 v7, v2, v7, vcc
	v_cmp_ne_u32_e32 vcc, 0, v5
	v_cndmask_b32_e64 v5, 0, 1, vcc
	v_cmp_eq_u32_e32 vcc, s10, v9
	v_cvt_f64_f32_e32 v[9:10], v10
	v_lshl_or_b32 v5, v5, 9, v2
	v_cndmask_b32_e32 v5, v7, v5, vcc
	v_lshrrev_b32_e32 v6, 16, v6
	v_and_or_b32 v7, v6, s11, v5
	v_mul_f64 v[5:6], v[9:10], s[2:3]
	v_and_b32_e32 v1, 0xffff, v1
	v_lshl_or_b32 v1, v7, 16, v1
	v_mov_b32_e32 v7, s4
	v_add_co_u32_e32 v3, vcc, s5, v3
	v_addc_co_u32_e32 v4, vcc, v4, v7, vcc
	global_store_dword v[3:4], v1, off
	v_and_or_b32 v1, v6, s6, v5
	v_cmp_ne_u32_e32 vcc, 0, v1
	v_cndmask_b32_e64 v1, 0, 1, vcc
	v_lshrrev_b32_e32 v5, 8, v6
	v_bfe_u32 v7, v6, 20, 11
	v_and_or_b32 v1, v5, s7, v1
	v_sub_u32_e32 v9, 0x3f1, v7
	v_or_b32_e32 v5, 0x1000, v1
	v_med3_i32 v9, v9, 0, 13
	v_lshrrev_b32_e32 v10, v9, v5
	v_lshlrev_b32_e32 v9, v9, v10
	v_mul_f16_sdwa v8, v28, v8 dst_sel:DWORD dst_unused:UNUSED_PAD src0_sel:WORD_1 src1_sel:DWORD
	v_cmp_ne_u32_e32 vcc, v9, v5
	v_fma_f16 v8, v28, v11, -v8
	v_cndmask_b32_e64 v5, 0, 1, vcc
	v_add_u32_e32 v9, 0xfffffc10, v7
	v_cvt_f32_f16_e32 v8, v8
	v_or_b32_e32 v5, v10, v5
	v_lshl_or_b32 v7, v9, 12, v1
	v_cmp_gt_i32_e32 vcc, 1, v9
	v_cndmask_b32_e32 v5, v7, v5, vcc
	v_and_b32_e32 v7, 7, v5
	v_cmp_lt_i32_e32 vcc, 5, v7
	v_cmp_eq_u32_e64 s[0:1], 3, v7
	v_cvt_f64_f32_e32 v[7:8], v8
	v_lshrrev_b32_e32 v5, 2, v5
	s_or_b64 vcc, s[0:1], vcc
	v_addc_co_u32_e32 v5, vcc, 0, v5, vcc
	v_mul_f64 v[7:8], v[7:8], s[2:3]
	v_cmp_gt_i32_e32 vcc, 31, v9
	v_cndmask_b32_e32 v5, v2, v5, vcc
	v_cmp_ne_u32_e32 vcc, 0, v1
	v_cndmask_b32_e64 v1, 0, 1, vcc
	v_lshl_or_b32 v1, v1, 9, v2
	v_cmp_eq_u32_e32 vcc, s10, v9
	v_cndmask_b32_e32 v1, v5, v1, vcc
	v_lshrrev_b32_e32 v5, 16, v6
	v_and_or_b32 v1, v5, s11, v1
	v_and_or_b32 v5, v8, s6, v7
	v_cmp_ne_u32_e32 vcc, 0, v5
	v_cndmask_b32_e64 v5, 0, 1, vcc
	v_lshrrev_b32_e32 v6, 8, v8
	v_and_or_b32 v7, v6, s7, v5
	v_bfe_u32 v6, v8, 20, 11
	v_sub_u32_e32 v9, 0x3f1, v6
	v_or_b32_e32 v5, 0x1000, v7
	v_med3_i32 v9, v9, 0, 13
	v_lshrrev_b32_e32 v10, v9, v5
	v_lshlrev_b32_e32 v9, v9, v10
	v_cmp_ne_u32_e32 vcc, v9, v5
	v_cndmask_b32_e64 v5, 0, 1, vcc
	v_add_u32_e32 v9, 0xfffffc10, v6
	v_or_b32_e32 v5, v10, v5
	v_lshl_or_b32 v6, v9, 12, v7
	v_cmp_gt_i32_e32 vcc, 1, v9
	v_cndmask_b32_e32 v5, v6, v5, vcc
	v_and_b32_e32 v6, 7, v5
	v_cmp_lt_i32_e32 vcc, 5, v6
	v_cmp_eq_u32_e64 s[0:1], 3, v6
	v_lshrrev_b32_e32 v5, 2, v5
	s_or_b64 vcc, s[0:1], vcc
	v_addc_co_u32_e32 v10, vcc, 0, v5, vcc
	ds_read2_b32 v[5:6], v29 offset0:160 offset1:216
	v_cmp_gt_i32_e32 vcc, 31, v9
	v_cndmask_b32_e32 v10, v2, v10, vcc
	v_cmp_ne_u32_e32 vcc, 0, v7
	v_cndmask_b32_e64 v7, 0, 1, vcc
	s_waitcnt lgkmcnt(0)
	v_lshrrev_b32_e32 v11, 16, v5
	v_mul_f16_sdwa v12, v27, v11 dst_sel:DWORD dst_unused:UNUSED_PAD src0_sel:WORD_1 src1_sel:DWORD
	v_fma_f16 v12, v27, v5, v12
	v_cvt_f32_f16_e32 v12, v12
	v_lshl_or_b32 v7, v7, 9, v2
	v_cmp_eq_u32_e32 vcc, s10, v9
	v_cndmask_b32_e32 v7, v10, v7, vcc
	v_cvt_f64_f32_e32 v[9:10], v12
	v_lshrrev_b32_e32 v8, 16, v8
	v_and_or_b32 v12, v8, s11, v7
	v_and_b32_e32 v1, 0xffff, v1
	v_mul_f64 v[7:8], v[9:10], s[2:3]
	v_mov_b32_e32 v9, s12
	v_add_co_u32_e32 v3, vcc, s13, v3
	v_lshl_or_b32 v1, v12, 16, v1
	v_addc_co_u32_e32 v4, vcc, v4, v9, vcc
	global_store_dword v[3:4], v1, off
	v_and_or_b32 v1, v8, s6, v7
	v_cmp_ne_u32_e32 vcc, 0, v1
	v_cndmask_b32_e64 v1, 0, 1, vcc
	v_lshrrev_b32_e32 v7, 8, v8
	v_bfe_u32 v9, v8, 20, 11
	v_and_or_b32 v1, v7, s7, v1
	v_sub_u32_e32 v10, 0x3f1, v9
	v_or_b32_e32 v7, 0x1000, v1
	v_med3_i32 v10, v10, 0, 13
	v_lshrrev_b32_e32 v12, v10, v7
	v_lshlrev_b32_e32 v10, v10, v12
	v_cmp_ne_u32_e32 vcc, v10, v7
	v_mul_f16_sdwa v5, v27, v5 dst_sel:DWORD dst_unused:UNUSED_PAD src0_sel:WORD_1 src1_sel:DWORD
	v_cndmask_b32_e64 v7, 0, 1, vcc
	v_fma_f16 v5, v27, v11, -v5
	v_or_b32_e32 v7, v12, v7
	v_add_u32_e32 v12, 0xfffffc10, v9
	v_cvt_f32_f16_e32 v5, v5
	v_lshl_or_b32 v9, v12, 12, v1
	v_cmp_gt_i32_e32 vcc, 1, v12
	v_cndmask_b32_e32 v7, v9, v7, vcc
	v_and_b32_e32 v9, 7, v7
	v_cmp_lt_i32_e32 vcc, 5, v9
	v_cmp_eq_u32_e64 s[0:1], 3, v9
	v_cvt_f64_f32_e32 v[9:10], v5
	v_lshrrev_b32_e32 v7, 2, v7
	s_or_b64 vcc, s[0:1], vcc
	v_addc_co_u32_e32 v5, vcc, 0, v7, vcc
	v_mul_f64 v[9:10], v[9:10], s[2:3]
	v_cmp_gt_i32_e32 vcc, 31, v12
	v_cndmask_b32_e32 v5, v2, v5, vcc
	v_cmp_ne_u32_e32 vcc, 0, v1
	v_cndmask_b32_e64 v1, 0, 1, vcc
	v_lshl_or_b32 v1, v1, 9, v2
	v_cmp_eq_u32_e32 vcc, s10, v12
	v_cndmask_b32_e32 v1, v5, v1, vcc
	v_lshrrev_b32_e32 v5, 16, v8
	v_and_or_b32 v1, v5, s11, v1
	v_and_or_b32 v5, v10, s6, v9
	v_cmp_ne_u32_e32 vcc, 0, v5
	v_cndmask_b32_e64 v5, 0, 1, vcc
	v_lshrrev_b32_e32 v7, 8, v10
	v_bfe_u32 v8, v10, 20, 11
	v_and_or_b32 v5, v7, s7, v5
	v_sub_u32_e32 v9, 0x3f1, v8
	v_or_b32_e32 v7, 0x1000, v5
	v_med3_i32 v9, v9, 0, 13
	v_lshrrev_b32_e32 v11, v9, v7
	v_lshlrev_b32_e32 v9, v9, v11
	v_cmp_ne_u32_e32 vcc, v9, v7
	v_cndmask_b32_e64 v7, 0, 1, vcc
	v_add_u32_e32 v8, 0xfffffc10, v8
	v_or_b32_e32 v7, v11, v7
	v_lshl_or_b32 v9, v8, 12, v5
	v_cmp_gt_i32_e32 vcc, 1, v8
	v_cndmask_b32_e32 v7, v9, v7, vcc
	v_and_b32_e32 v9, 7, v7
	v_cmp_lt_i32_e32 vcc, 5, v9
	v_cmp_eq_u32_e64 s[0:1], 3, v9
	v_lshrrev_b32_e32 v9, 16, v0
	v_lshrrev_b32_e32 v7, 2, v7
	s_or_b64 vcc, s[0:1], vcc
	v_mul_f16_sdwa v11, v26, v9 dst_sel:DWORD dst_unused:UNUSED_PAD src0_sel:WORD_1 src1_sel:DWORD
	v_addc_co_u32_e32 v7, vcc, 0, v7, vcc
	v_fma_f16 v11, v26, v0, v11
	v_cmp_gt_i32_e32 vcc, 31, v8
	v_cvt_f32_f16_e32 v11, v11
	v_cndmask_b32_e32 v7, v2, v7, vcc
	v_cmp_ne_u32_e32 vcc, 0, v5
	v_cndmask_b32_e64 v5, 0, 1, vcc
	v_lshl_or_b32 v5, v5, 9, v2
	v_cmp_eq_u32_e32 vcc, s10, v8
	v_cndmask_b32_e32 v5, v7, v5, vcc
	v_cvt_f64_f32_e32 v[7:8], v11
	v_lshrrev_b32_e32 v10, 16, v10
	v_and_or_b32 v5, v10, s11, v5
	v_and_b32_e32 v1, 0xffff, v1
	v_mul_f64 v[7:8], v[7:8], s[2:3]
	v_lshl_or_b32 v1, v5, 16, v1
	v_mov_b32_e32 v5, s4
	v_add_co_u32_e32 v3, vcc, s5, v3
	v_addc_co_u32_e32 v4, vcc, v4, v5, vcc
	global_store_dword v[3:4], v1, off
	v_and_or_b32 v1, v8, s6, v7
	v_cmp_ne_u32_e32 vcc, 0, v1
	v_cndmask_b32_e64 v1, 0, 1, vcc
	v_lshrrev_b32_e32 v5, 8, v8
	v_bfe_u32 v7, v8, 20, 11
	v_and_or_b32 v5, v5, s7, v1
	v_sub_u32_e32 v10, 0x3f1, v7
	v_or_b32_e32 v1, 0x1000, v5
	v_med3_i32 v10, v10, 0, 13
	v_lshrrev_b32_e32 v11, v10, v1
	v_mul_f16_sdwa v0, v26, v0 dst_sel:DWORD dst_unused:UNUSED_PAD src0_sel:WORD_1 src1_sel:DWORD
	v_lshlrev_b32_e32 v10, v10, v11
	v_fma_f16 v0, v26, v9, -v0
	v_cmp_ne_u32_e32 vcc, v10, v1
	v_cvt_f32_f16_e32 v0, v0
	v_cndmask_b32_e64 v1, 0, 1, vcc
	v_add_u32_e32 v7, 0xfffffc10, v7
	v_or_b32_e32 v1, v11, v1
	v_lshl_or_b32 v10, v7, 12, v5
	v_cmp_gt_i32_e32 vcc, 1, v7
	v_cndmask_b32_e32 v1, v10, v1, vcc
	v_and_b32_e32 v10, 7, v1
	v_lshrrev_b32_e32 v9, 2, v1
	v_cvt_f64_f32_e32 v[0:1], v0
	v_cmp_lt_i32_e32 vcc, 5, v10
	v_cmp_eq_u32_e64 s[0:1], 3, v10
	s_or_b64 vcc, s[0:1], vcc
	v_mul_f64 v[0:1], v[0:1], s[2:3]
	v_addc_co_u32_e32 v9, vcc, 0, v9, vcc
	v_cmp_gt_i32_e32 vcc, 31, v7
	v_cndmask_b32_e32 v9, v2, v9, vcc
	v_cmp_ne_u32_e32 vcc, 0, v5
	v_cndmask_b32_e64 v5, 0, 1, vcc
	v_lshl_or_b32 v5, v5, 9, v2
	v_cmp_eq_u32_e32 vcc, s10, v7
	v_and_or_b32 v0, v1, s6, v0
	v_cndmask_b32_e32 v5, v9, v5, vcc
	v_lshrrev_b32_e32 v7, 16, v8
	v_cmp_ne_u32_e32 vcc, 0, v0
	v_and_or_b32 v5, v7, s11, v5
	v_cndmask_b32_e64 v0, 0, 1, vcc
	v_lshrrev_b32_e32 v7, 8, v1
	v_bfe_u32 v8, v1, 20, 11
	v_and_or_b32 v0, v7, s7, v0
	v_sub_u32_e32 v9, 0x3f1, v8
	v_or_b32_e32 v7, 0x1000, v0
	v_med3_i32 v9, v9, 0, 13
	v_lshrrev_b32_e32 v10, v9, v7
	v_lshlrev_b32_e32 v9, v9, v10
	v_cmp_ne_u32_e32 vcc, v9, v7
	v_cndmask_b32_e64 v7, 0, 1, vcc
	v_add_u32_e32 v8, 0xfffffc10, v8
	v_or_b32_e32 v7, v10, v7
	v_lshl_or_b32 v9, v8, 12, v0
	v_cmp_gt_i32_e32 vcc, 1, v8
	v_cndmask_b32_e32 v7, v9, v7, vcc
	v_and_b32_e32 v9, 7, v7
	v_cmp_lt_i32_e32 vcc, 5, v9
	v_cmp_eq_u32_e64 s[0:1], 3, v9
	v_lshrrev_b32_e32 v9, 16, v6
	v_lshrrev_b32_e32 v7, 2, v7
	s_or_b64 vcc, s[0:1], vcc
	v_mul_f16_sdwa v10, v25, v9 dst_sel:DWORD dst_unused:UNUSED_PAD src0_sel:WORD_1 src1_sel:DWORD
	v_addc_co_u32_e32 v7, vcc, 0, v7, vcc
	v_fma_f16 v10, v25, v6, v10
	v_cmp_gt_i32_e32 vcc, 31, v8
	v_cvt_f32_f16_e32 v10, v10
	v_cndmask_b32_e32 v7, v2, v7, vcc
	v_cmp_ne_u32_e32 vcc, 0, v0
	v_cndmask_b32_e64 v0, 0, 1, vcc
	v_lshl_or_b32 v0, v0, 9, v2
	v_cmp_eq_u32_e32 vcc, s10, v8
	v_cndmask_b32_e32 v0, v7, v0, vcc
	v_cvt_f64_f32_e32 v[7:8], v10
	v_lshrrev_b32_e32 v1, 16, v1
	v_and_or_b32 v10, v1, s11, v0
	v_add_co_u32_e32 v3, vcc, s13, v3
	v_mul_f64 v[0:1], v[7:8], s[2:3]
	v_mov_b32_e32 v7, s12
	v_and_b32_e32 v5, 0xffff, v5
	v_addc_co_u32_e32 v4, vcc, v4, v7, vcc
	v_lshl_or_b32 v5, v10, 16, v5
	global_store_dword v[3:4], v5, off
	v_mul_f16_sdwa v6, v25, v6 dst_sel:DWORD dst_unused:UNUSED_PAD src0_sel:WORD_1 src1_sel:DWORD
	v_and_or_b32 v0, v1, s6, v0
	v_cmp_ne_u32_e32 vcc, 0, v0
	v_cndmask_b32_e64 v0, 0, 1, vcc
	v_lshrrev_b32_e32 v5, 8, v1
	v_bfe_u32 v7, v1, 20, 11
	v_and_or_b32 v0, v5, s7, v0
	v_sub_u32_e32 v8, 0x3f1, v7
	v_or_b32_e32 v5, 0x1000, v0
	v_med3_i32 v8, v8, 0, 13
	v_lshrrev_b32_e32 v10, v8, v5
	v_lshlrev_b32_e32 v8, v8, v10
	v_cmp_ne_u32_e32 vcc, v8, v5
	v_fma_f16 v6, v25, v9, -v6
	v_cndmask_b32_e64 v5, 0, 1, vcc
	v_add_u32_e32 v7, 0xfffffc10, v7
	v_cvt_f32_f16_e32 v6, v6
	v_or_b32_e32 v5, v10, v5
	v_lshl_or_b32 v8, v7, 12, v0
	v_cmp_gt_i32_e32 vcc, 1, v7
	v_cndmask_b32_e32 v5, v8, v5, vcc
	v_and_b32_e32 v8, 7, v5
	v_cmp_lt_i32_e32 vcc, 5, v8
	v_cmp_eq_u32_e64 s[0:1], 3, v8
	v_lshrrev_b32_e32 v8, 2, v5
	v_cvt_f64_f32_e32 v[5:6], v6
	s_or_b64 vcc, s[0:1], vcc
	v_addc_co_u32_e32 v8, vcc, 0, v8, vcc
	v_mul_f64 v[5:6], v[5:6], s[2:3]
	v_cmp_gt_i32_e32 vcc, 31, v7
	v_cndmask_b32_e32 v8, v2, v8, vcc
	v_cmp_ne_u32_e32 vcc, 0, v0
	v_cndmask_b32_e64 v0, 0, 1, vcc
	v_lshl_or_b32 v0, v0, 9, v2
	v_cmp_eq_u32_e32 vcc, s10, v7
	v_cndmask_b32_e32 v0, v8, v0, vcc
	v_lshrrev_b32_e32 v1, 16, v1
	v_and_or_b32 v0, v1, s11, v0
	v_and_or_b32 v1, v6, s6, v5
	v_cmp_ne_u32_e32 vcc, 0, v1
	v_cndmask_b32_e64 v1, 0, 1, vcc
	v_lshrrev_b32_e32 v5, 8, v6
	v_bfe_u32 v7, v6, 20, 11
	v_and_or_b32 v1, v5, s7, v1
	v_sub_u32_e32 v8, 0x3f1, v7
	v_or_b32_e32 v5, 0x1000, v1
	v_med3_i32 v8, v8, 0, 13
	v_lshrrev_b32_e32 v9, v8, v5
	v_lshlrev_b32_e32 v8, v8, v9
	v_cmp_ne_u32_e32 vcc, v8, v5
	v_cndmask_b32_e64 v5, 0, 1, vcc
	v_add_u32_e32 v7, 0xfffffc10, v7
	v_or_b32_e32 v5, v9, v5
	v_lshl_or_b32 v8, v7, 12, v1
	v_cmp_gt_i32_e32 vcc, 1, v7
	v_cndmask_b32_e32 v5, v8, v5, vcc
	v_and_b32_e32 v8, 7, v5
	v_cmp_lt_i32_e32 vcc, 5, v8
	v_cmp_eq_u32_e64 s[0:1], 3, v8
	v_lshrrev_b32_e32 v5, 2, v5
	s_or_b64 vcc, s[0:1], vcc
	v_addc_co_u32_e32 v5, vcc, 0, v5, vcc
	v_cmp_gt_i32_e32 vcc, 31, v7
	v_cndmask_b32_e32 v5, v2, v5, vcc
	v_cmp_ne_u32_e32 vcc, 0, v1
	v_cndmask_b32_e64 v1, 0, 1, vcc
	v_lshl_or_b32 v1, v1, 9, v2
	v_cmp_eq_u32_e32 vcc, s10, v7
	v_cndmask_b32_e32 v1, v5, v1, vcc
	v_lshrrev_b32_e32 v2, 16, v6
	v_and_or_b32 v1, v2, s11, v1
	v_and_b32_e32 v0, 0xffff, v0
	v_lshl_or_b32 v2, v1, 16, v0
	v_mov_b32_e32 v1, s4
	v_add_co_u32_e32 v0, vcc, s5, v3
	v_addc_co_u32_e32 v1, vcc, v4, v1, vcc
	global_store_dword v[0:1], v2, off
.LBB0_2:
	s_endpgm
	.section	.rodata,"a",@progbits
	.p2align	6, 0x0
	.amdhsa_kernel bluestein_single_fwd_len784_dim1_half_op_CI_CI
		.amdhsa_group_segment_fixed_size 3136
		.amdhsa_private_segment_fixed_size 0
		.amdhsa_kernarg_size 104
		.amdhsa_user_sgpr_count 6
		.amdhsa_user_sgpr_private_segment_buffer 1
		.amdhsa_user_sgpr_dispatch_ptr 0
		.amdhsa_user_sgpr_queue_ptr 0
		.amdhsa_user_sgpr_kernarg_segment_ptr 1
		.amdhsa_user_sgpr_dispatch_id 0
		.amdhsa_user_sgpr_flat_scratch_init 0
		.amdhsa_user_sgpr_private_segment_size 0
		.amdhsa_uses_dynamic_stack 0
		.amdhsa_system_sgpr_private_segment_wavefront_offset 0
		.amdhsa_system_sgpr_workgroup_id_x 1
		.amdhsa_system_sgpr_workgroup_id_y 0
		.amdhsa_system_sgpr_workgroup_id_z 0
		.amdhsa_system_sgpr_workgroup_info 0
		.amdhsa_system_vgpr_workitem_id 0
		.amdhsa_next_free_vgpr 111
		.amdhsa_next_free_sgpr 22
		.amdhsa_reserve_vcc 1
		.amdhsa_reserve_flat_scratch 0
		.amdhsa_float_round_mode_32 0
		.amdhsa_float_round_mode_16_64 0
		.amdhsa_float_denorm_mode_32 3
		.amdhsa_float_denorm_mode_16_64 3
		.amdhsa_dx10_clamp 1
		.amdhsa_ieee_mode 1
		.amdhsa_fp16_overflow 0
		.amdhsa_exception_fp_ieee_invalid_op 0
		.amdhsa_exception_fp_denorm_src 0
		.amdhsa_exception_fp_ieee_div_zero 0
		.amdhsa_exception_fp_ieee_overflow 0
		.amdhsa_exception_fp_ieee_underflow 0
		.amdhsa_exception_fp_ieee_inexact 0
		.amdhsa_exception_int_div_zero 0
	.end_amdhsa_kernel
	.text
.Lfunc_end0:
	.size	bluestein_single_fwd_len784_dim1_half_op_CI_CI, .Lfunc_end0-bluestein_single_fwd_len784_dim1_half_op_CI_CI
                                        ; -- End function
	.section	.AMDGPU.csdata,"",@progbits
; Kernel info:
; codeLenInByte = 21076
; NumSgprs: 26
; NumVgprs: 111
; ScratchSize: 0
; MemoryBound: 0
; FloatMode: 240
; IeeeMode: 1
; LDSByteSize: 3136 bytes/workgroup (compile time only)
; SGPRBlocks: 3
; VGPRBlocks: 27
; NumSGPRsForWavesPerEU: 26
; NumVGPRsForWavesPerEU: 111
; Occupancy: 2
; WaveLimiterHint : 1
; COMPUTE_PGM_RSRC2:SCRATCH_EN: 0
; COMPUTE_PGM_RSRC2:USER_SGPR: 6
; COMPUTE_PGM_RSRC2:TRAP_HANDLER: 0
; COMPUTE_PGM_RSRC2:TGID_X_EN: 1
; COMPUTE_PGM_RSRC2:TGID_Y_EN: 0
; COMPUTE_PGM_RSRC2:TGID_Z_EN: 0
; COMPUTE_PGM_RSRC2:TIDIG_COMP_CNT: 0
	.type	__hip_cuid_cd4b351dcee9ae1b,@object ; @__hip_cuid_cd4b351dcee9ae1b
	.section	.bss,"aw",@nobits
	.globl	__hip_cuid_cd4b351dcee9ae1b
__hip_cuid_cd4b351dcee9ae1b:
	.byte	0                               ; 0x0
	.size	__hip_cuid_cd4b351dcee9ae1b, 1

	.ident	"AMD clang version 19.0.0git (https://github.com/RadeonOpenCompute/llvm-project roc-6.4.0 25133 c7fe45cf4b819c5991fe208aaa96edf142730f1d)"
	.section	".note.GNU-stack","",@progbits
	.addrsig
	.addrsig_sym __hip_cuid_cd4b351dcee9ae1b
	.amdgpu_metadata
---
amdhsa.kernels:
  - .args:
      - .actual_access:  read_only
        .address_space:  global
        .offset:         0
        .size:           8
        .value_kind:     global_buffer
      - .actual_access:  read_only
        .address_space:  global
        .offset:         8
        .size:           8
        .value_kind:     global_buffer
      - .actual_access:  read_only
        .address_space:  global
        .offset:         16
        .size:           8
        .value_kind:     global_buffer
      - .actual_access:  read_only
        .address_space:  global
        .offset:         24
        .size:           8
        .value_kind:     global_buffer
      - .actual_access:  read_only
        .address_space:  global
        .offset:         32
        .size:           8
        .value_kind:     global_buffer
      - .offset:         40
        .size:           8
        .value_kind:     by_value
      - .address_space:  global
        .offset:         48
        .size:           8
        .value_kind:     global_buffer
      - .address_space:  global
        .offset:         56
        .size:           8
        .value_kind:     global_buffer
      - .address_space:  global
        .offset:         64
        .size:           8
        .value_kind:     global_buffer
      - .address_space:  global
        .offset:         72
        .size:           8
        .value_kind:     global_buffer
      - .offset:         80
        .size:           4
        .value_kind:     by_value
      - .address_space:  global
        .offset:         88
        .size:           8
        .value_kind:     global_buffer
      - .address_space:  global
        .offset:         96
        .size:           8
        .value_kind:     global_buffer
    .group_segment_fixed_size: 3136
    .kernarg_segment_align: 8
    .kernarg_segment_size: 104
    .language:       OpenCL C
    .language_version:
      - 2
      - 0
    .max_flat_workgroup_size: 56
    .name:           bluestein_single_fwd_len784_dim1_half_op_CI_CI
    .private_segment_fixed_size: 0
    .sgpr_count:     26
    .sgpr_spill_count: 0
    .symbol:         bluestein_single_fwd_len784_dim1_half_op_CI_CI.kd
    .uniform_work_group_size: 1
    .uses_dynamic_stack: false
    .vgpr_count:     111
    .vgpr_spill_count: 0
    .wavefront_size: 64
amdhsa.target:   amdgcn-amd-amdhsa--gfx906
amdhsa.version:
  - 1
  - 2
...

	.end_amdgpu_metadata
